;; amdgpu-corpus repo=ROCm/rocFFT kind=compiled arch=gfx1030 opt=O3
	.text
	.amdgcn_target "amdgcn-amd-amdhsa--gfx1030"
	.amdhsa_code_object_version 6
	.protected	fft_rtc_back_len2160_factors_10_6_6_6_wgs_60_tpt_60_halfLds_sp_op_CI_CI_unitstride_sbrr_R2C_dirReg ; -- Begin function fft_rtc_back_len2160_factors_10_6_6_6_wgs_60_tpt_60_halfLds_sp_op_CI_CI_unitstride_sbrr_R2C_dirReg
	.globl	fft_rtc_back_len2160_factors_10_6_6_6_wgs_60_tpt_60_halfLds_sp_op_CI_CI_unitstride_sbrr_R2C_dirReg
	.p2align	8
	.type	fft_rtc_back_len2160_factors_10_6_6_6_wgs_60_tpt_60_halfLds_sp_op_CI_CI_unitstride_sbrr_R2C_dirReg,@function
fft_rtc_back_len2160_factors_10_6_6_6_wgs_60_tpt_60_halfLds_sp_op_CI_CI_unitstride_sbrr_R2C_dirReg: ; @fft_rtc_back_len2160_factors_10_6_6_6_wgs_60_tpt_60_halfLds_sp_op_CI_CI_unitstride_sbrr_R2C_dirReg
; %bb.0:
	s_clause 0x2
	s_load_dwordx4 s[12:15], s[4:5], 0x0
	s_load_dwordx4 s[8:11], s[4:5], 0x58
	;; [unrolled: 1-line block ×3, first 2 shown]
	v_mul_u32_u24_e32 v1, 0x445, v0
	v_mov_b32_e32 v3, 0
	v_add_nc_u32_sdwa v5, s6, v1 dst_sel:DWORD dst_unused:UNUSED_PAD src0_sel:DWORD src1_sel:WORD_1
	v_mov_b32_e32 v1, 0
	v_mov_b32_e32 v6, v3
	v_mov_b32_e32 v2, 0
	s_waitcnt lgkmcnt(0)
	v_cmp_lt_u64_e64 s0, s[14:15], 2
	s_and_b32 vcc_lo, exec_lo, s0
	s_cbranch_vccnz .LBB0_8
; %bb.1:
	s_load_dwordx2 s[0:1], s[4:5], 0x10
	v_mov_b32_e32 v1, 0
	v_mov_b32_e32 v2, 0
	s_add_u32 s2, s18, 8
	s_addc_u32 s3, s19, 0
	s_add_u32 s6, s16, 8
	s_addc_u32 s7, s17, 0
	v_mov_b32_e32 v83, v2
	v_mov_b32_e32 v82, v1
	s_mov_b64 s[22:23], 1
	s_waitcnt lgkmcnt(0)
	s_add_u32 s20, s0, 8
	s_addc_u32 s21, s1, 0
.LBB0_2:                                ; =>This Inner Loop Header: Depth=1
	s_load_dwordx2 s[24:25], s[20:21], 0x0
                                        ; implicit-def: $vgpr86_vgpr87
	s_mov_b32 s0, exec_lo
	s_waitcnt lgkmcnt(0)
	v_or_b32_e32 v4, s25, v6
	v_cmpx_ne_u64_e32 0, v[3:4]
	s_xor_b32 s1, exec_lo, s0
	s_cbranch_execz .LBB0_4
; %bb.3:                                ;   in Loop: Header=BB0_2 Depth=1
	v_cvt_f32_u32_e32 v4, s24
	v_cvt_f32_u32_e32 v7, s25
	s_sub_u32 s0, 0, s24
	s_subb_u32 s26, 0, s25
	v_fmac_f32_e32 v4, 0x4f800000, v7
	v_rcp_f32_e32 v4, v4
	v_mul_f32_e32 v4, 0x5f7ffffc, v4
	v_mul_f32_e32 v7, 0x2f800000, v4
	v_trunc_f32_e32 v7, v7
	v_fmac_f32_e32 v4, 0xcf800000, v7
	v_cvt_u32_f32_e32 v7, v7
	v_cvt_u32_f32_e32 v4, v4
	v_mul_lo_u32 v8, s0, v7
	v_mul_hi_u32 v9, s0, v4
	v_mul_lo_u32 v10, s26, v4
	v_add_nc_u32_e32 v8, v9, v8
	v_mul_lo_u32 v9, s0, v4
	v_add_nc_u32_e32 v8, v8, v10
	v_mul_hi_u32 v10, v4, v9
	v_mul_lo_u32 v11, v4, v8
	v_mul_hi_u32 v12, v4, v8
	v_mul_hi_u32 v13, v7, v9
	v_mul_lo_u32 v9, v7, v9
	v_mul_hi_u32 v14, v7, v8
	v_mul_lo_u32 v8, v7, v8
	v_add_co_u32 v10, vcc_lo, v10, v11
	v_add_co_ci_u32_e32 v11, vcc_lo, 0, v12, vcc_lo
	v_add_co_u32 v9, vcc_lo, v10, v9
	v_add_co_ci_u32_e32 v9, vcc_lo, v11, v13, vcc_lo
	v_add_co_ci_u32_e32 v10, vcc_lo, 0, v14, vcc_lo
	v_add_co_u32 v8, vcc_lo, v9, v8
	v_add_co_ci_u32_e32 v9, vcc_lo, 0, v10, vcc_lo
	v_add_co_u32 v4, vcc_lo, v4, v8
	v_add_co_ci_u32_e32 v7, vcc_lo, v7, v9, vcc_lo
	v_mul_hi_u32 v8, s0, v4
	v_mul_lo_u32 v10, s26, v4
	v_mul_lo_u32 v9, s0, v7
	v_add_nc_u32_e32 v8, v8, v9
	v_mul_lo_u32 v9, s0, v4
	v_add_nc_u32_e32 v8, v8, v10
	v_mul_hi_u32 v10, v4, v9
	v_mul_lo_u32 v11, v4, v8
	v_mul_hi_u32 v12, v4, v8
	v_mul_hi_u32 v13, v7, v9
	v_mul_lo_u32 v9, v7, v9
	v_mul_hi_u32 v14, v7, v8
	v_mul_lo_u32 v8, v7, v8
	v_add_co_u32 v10, vcc_lo, v10, v11
	v_add_co_ci_u32_e32 v11, vcc_lo, 0, v12, vcc_lo
	v_add_co_u32 v9, vcc_lo, v10, v9
	v_add_co_ci_u32_e32 v9, vcc_lo, v11, v13, vcc_lo
	v_add_co_ci_u32_e32 v10, vcc_lo, 0, v14, vcc_lo
	v_add_co_u32 v8, vcc_lo, v9, v8
	v_add_co_ci_u32_e32 v9, vcc_lo, 0, v10, vcc_lo
	v_add_co_u32 v4, vcc_lo, v4, v8
	v_add_co_ci_u32_e32 v11, vcc_lo, v7, v9, vcc_lo
	v_mul_hi_u32 v13, v5, v4
	v_mad_u64_u32 v[9:10], null, v6, v4, 0
	v_mad_u64_u32 v[7:8], null, v5, v11, 0
	;; [unrolled: 1-line block ×3, first 2 shown]
	v_add_co_u32 v4, vcc_lo, v13, v7
	v_add_co_ci_u32_e32 v7, vcc_lo, 0, v8, vcc_lo
	v_add_co_u32 v4, vcc_lo, v4, v9
	v_add_co_ci_u32_e32 v4, vcc_lo, v7, v10, vcc_lo
	v_add_co_ci_u32_e32 v7, vcc_lo, 0, v12, vcc_lo
	v_add_co_u32 v4, vcc_lo, v4, v11
	v_add_co_ci_u32_e32 v9, vcc_lo, 0, v7, vcc_lo
	v_mul_lo_u32 v10, s25, v4
	v_mad_u64_u32 v[7:8], null, s24, v4, 0
	v_mul_lo_u32 v11, s24, v9
	v_sub_co_u32 v7, vcc_lo, v5, v7
	v_add3_u32 v8, v8, v11, v10
	v_sub_nc_u32_e32 v10, v6, v8
	v_subrev_co_ci_u32_e64 v10, s0, s25, v10, vcc_lo
	v_add_co_u32 v11, s0, v4, 2
	v_add_co_ci_u32_e64 v12, s0, 0, v9, s0
	v_sub_co_u32 v13, s0, v7, s24
	v_sub_co_ci_u32_e32 v8, vcc_lo, v6, v8, vcc_lo
	v_subrev_co_ci_u32_e64 v10, s0, 0, v10, s0
	v_cmp_le_u32_e32 vcc_lo, s24, v13
	v_cmp_eq_u32_e64 s0, s25, v8
	v_cndmask_b32_e64 v13, 0, -1, vcc_lo
	v_cmp_le_u32_e32 vcc_lo, s25, v10
	v_cndmask_b32_e64 v14, 0, -1, vcc_lo
	v_cmp_le_u32_e32 vcc_lo, s24, v7
	;; [unrolled: 2-line block ×3, first 2 shown]
	v_cndmask_b32_e64 v15, 0, -1, vcc_lo
	v_cmp_eq_u32_e32 vcc_lo, s25, v10
	v_cndmask_b32_e64 v7, v15, v7, s0
	v_cndmask_b32_e32 v10, v14, v13, vcc_lo
	v_add_co_u32 v13, vcc_lo, v4, 1
	v_add_co_ci_u32_e32 v14, vcc_lo, 0, v9, vcc_lo
	v_cmp_ne_u32_e32 vcc_lo, 0, v10
	v_cndmask_b32_e32 v8, v14, v12, vcc_lo
	v_cndmask_b32_e32 v10, v13, v11, vcc_lo
	v_cmp_ne_u32_e32 vcc_lo, 0, v7
	v_cndmask_b32_e32 v87, v9, v8, vcc_lo
	v_cndmask_b32_e32 v86, v4, v10, vcc_lo
.LBB0_4:                                ;   in Loop: Header=BB0_2 Depth=1
	s_andn2_saveexec_b32 s0, s1
	s_cbranch_execz .LBB0_6
; %bb.5:                                ;   in Loop: Header=BB0_2 Depth=1
	v_cvt_f32_u32_e32 v4, s24
	s_sub_i32 s1, 0, s24
	v_mov_b32_e32 v87, v3
	v_rcp_iflag_f32_e32 v4, v4
	v_mul_f32_e32 v4, 0x4f7ffffe, v4
	v_cvt_u32_f32_e32 v4, v4
	v_mul_lo_u32 v7, s1, v4
	v_mul_hi_u32 v7, v4, v7
	v_add_nc_u32_e32 v4, v4, v7
	v_mul_hi_u32 v4, v5, v4
	v_mul_lo_u32 v7, v4, s24
	v_add_nc_u32_e32 v8, 1, v4
	v_sub_nc_u32_e32 v7, v5, v7
	v_subrev_nc_u32_e32 v9, s24, v7
	v_cmp_le_u32_e32 vcc_lo, s24, v7
	v_cndmask_b32_e32 v7, v7, v9, vcc_lo
	v_cndmask_b32_e32 v4, v4, v8, vcc_lo
	v_cmp_le_u32_e32 vcc_lo, s24, v7
	v_add_nc_u32_e32 v8, 1, v4
	v_cndmask_b32_e32 v86, v4, v8, vcc_lo
.LBB0_6:                                ;   in Loop: Header=BB0_2 Depth=1
	s_or_b32 exec_lo, exec_lo, s0
	v_mul_lo_u32 v4, v87, s24
	v_mul_lo_u32 v9, v86, s25
	s_load_dwordx2 s[0:1], s[6:7], 0x0
	v_mad_u64_u32 v[7:8], null, v86, s24, 0
	s_load_dwordx2 s[24:25], s[2:3], 0x0
	s_add_u32 s22, s22, 1
	s_addc_u32 s23, s23, 0
	s_add_u32 s2, s2, 8
	s_addc_u32 s3, s3, 0
	s_add_u32 s6, s6, 8
	v_add3_u32 v4, v8, v9, v4
	v_sub_co_u32 v5, vcc_lo, v5, v7
	s_addc_u32 s7, s7, 0
	s_add_u32 s20, s20, 8
	v_sub_co_ci_u32_e32 v4, vcc_lo, v6, v4, vcc_lo
	s_addc_u32 s21, s21, 0
	s_waitcnt lgkmcnt(0)
	v_mul_lo_u32 v6, s0, v4
	v_mul_lo_u32 v7, s1, v5
	v_mad_u64_u32 v[1:2], null, s0, v5, v[1:2]
	v_mul_lo_u32 v4, s24, v4
	v_mul_lo_u32 v8, s25, v5
	v_mad_u64_u32 v[82:83], null, s24, v5, v[82:83]
	v_cmp_ge_u64_e64 s0, s[22:23], s[14:15]
	v_add3_u32 v2, v7, v2, v6
	v_add3_u32 v83, v8, v83, v4
	s_and_b32 vcc_lo, exec_lo, s0
	s_cbranch_vccnz .LBB0_9
; %bb.7:                                ;   in Loop: Header=BB0_2 Depth=1
	v_mov_b32_e32 v5, v86
	v_mov_b32_e32 v6, v87
	s_branch .LBB0_2
.LBB0_8:
	v_mov_b32_e32 v83, v2
	v_mov_b32_e32 v87, v6
	;; [unrolled: 1-line block ×4, first 2 shown]
.LBB0_9:
	s_load_dwordx2 s[0:1], s[4:5], 0x28
	v_mul_hi_u32 v3, 0x4444445, v0
	s_lshl_b64 s[4:5], s[14:15], 3
                                        ; implicit-def: $vgpr80
                                        ; implicit-def: $vgpr84
                                        ; implicit-def: $vgpr89
                                        ; implicit-def: $vgpr88
	s_add_u32 s2, s18, s4
	s_addc_u32 s3, s19, s5
	s_waitcnt lgkmcnt(0)
	v_cmp_gt_u64_e32 vcc_lo, s[0:1], v[86:87]
	v_cmp_le_u64_e64 s0, s[0:1], v[86:87]
	s_and_saveexec_b32 s1, s0
	s_xor_b32 s0, exec_lo, s1
; %bb.10:
	v_mul_u32_u24_e32 v1, 60, v3
                                        ; implicit-def: $vgpr3
	v_sub_nc_u32_e32 v80, v0, v1
                                        ; implicit-def: $vgpr0
                                        ; implicit-def: $vgpr1_vgpr2
	v_add_nc_u32_e32 v84, 60, v80
	v_add_nc_u32_e32 v89, 0x78, v80
	;; [unrolled: 1-line block ×3, first 2 shown]
; %bb.11:
	s_andn2_saveexec_b32 s1, s0
	s_cbranch_execz .LBB0_13
; %bb.12:
	s_add_u32 s4, s16, s4
	s_addc_u32 s5, s17, s5
	v_mul_u32_u24_e32 v3, 60, v3
	s_load_dwordx2 s[4:5], s[4:5], 0x0
	v_sub_nc_u32_e32 v80, v0, v3
	v_lshlrev_b64 v[0:1], 3, v[1:2]
	v_lshlrev_b32_e32 v72, 3, v80
	v_add_nc_u32_e32 v84, 60, v80
	v_add_nc_u32_e32 v89, 0x78, v80
	;; [unrolled: 1-line block ×3, first 2 shown]
	s_waitcnt lgkmcnt(0)
	v_mul_lo_u32 v6, s5, v86
	v_mul_lo_u32 v7, s4, v87
	v_mad_u64_u32 v[4:5], null, s4, v86, 0
	v_add3_u32 v5, v5, v7, v6
	v_or_b32_e32 v7, 0x3c00, v72
	v_lshlrev_b64 v[3:4], 3, v[4:5]
	v_add_co_u32 v2, s0, s8, v3
	v_add_co_ci_u32_e64 v3, s0, s9, v4, s0
	v_or_b32_e32 v4, 0x1e00, v72
	v_add_co_u32 v5, s0, v2, v0
	v_add_co_ci_u32_e64 v6, s0, v3, v1, s0
	v_add_co_u32 v0, s0, v5, v72
	v_add_co_ci_u32_e64 v1, s0, 0, v6, s0
	;; [unrolled: 2-line block ×11, first 2 shown]
	s_clause 0xb
	global_load_dwordx2 v[10:11], v[0:1], off
	global_load_dwordx2 v[12:13], v[0:1], off offset:480
	global_load_dwordx2 v[14:15], v[0:1], off offset:960
	;; [unrolled: 1-line block ×11, first 2 shown]
	v_add_co_u32 v0, s0, 0x4000, v0
	v_add_co_ci_u32_e64 v1, s0, 0, v1, s0
	s_clause 0x17
	global_load_dwordx2 v[8:9], v[8:9], off offset:1664
	global_load_dwordx2 v[42:43], v[18:19], off offset:96
	;; [unrolled: 1-line block ×6, first 2 shown]
	global_load_dwordx2 v[2:3], v[2:3], off
	global_load_dwordx2 v[18:19], v[18:19], off offset:2016
	global_load_dwordx2 v[52:53], v[20:21], off offset:1408
	;; [unrolled: 1-line block ×15, first 2 shown]
	global_load_dwordx2 v[4:5], v[4:5], off
	global_load_dwordx2 v[40:41], v[40:41], off offset:1984
	v_add_nc_u32_e32 v72, 0, v72
	v_add_nc_u32_e32 v73, 0x400, v72
	;; [unrolled: 1-line block ×12, first 2 shown]
	s_waitcnt vmcnt(34)
	ds_write2_b64 v72, v[10:11], v[12:13] offset1:60
	s_waitcnt vmcnt(32)
	ds_write2_b64 v72, v[14:15], v[16:17] offset0:120 offset1:180
	s_waitcnt vmcnt(30)
	ds_write2_b64 v73, v[22:23], v[24:25] offset0:112 offset1:172
	;; [unrolled: 2-line block ×8, first 2 shown]
	ds_write2_b64 v79, v[50:51], v[48:49] offset0:56 offset1:116
	s_waitcnt vmcnt(14)
	ds_write2_b64 v79, v[52:53], v[20:21] offset0:176 offset1:236
	s_waitcnt vmcnt(12)
	;; [unrolled: 2-line block ×8, first 2 shown]
	ds_write2_b64 v91, v[40:41], v[0:1] offset0:120 offset1:180
.LBB0_13:
	s_or_b32 exec_lo, exec_lo, s1
	v_lshl_add_u32 v91, v80, 3, 0
	s_load_dwordx2 s[2:3], s[2:3], 0x0
	s_waitcnt lgkmcnt(0)
	s_barrier
	buffer_gl0_inv
	v_add_nc_u32_e32 v95, 0x800, v91
	v_add_nc_u32_e32 v90, 0x2800, v91
	;; [unrolled: 1-line block ×9, first 2 shown]
	ds_read2_b64 v[68:71], v95 offset0:176 offset1:236
	ds_read2_b64 v[72:75], v81 offset0:96 offset1:156
	;; [unrolled: 1-line block ×9, first 2 shown]
	ds_read2_b64 v[76:79], v91 offset1:60
	v_add_nc_u32_e32 v98, 0x1c00, v91
	s_mov_b32 s1, exec_lo
	s_waitcnt lgkmcnt(8)
	v_sub_f32_e32 v12, v68, v72
	s_waitcnt lgkmcnt(4)
	v_add_f32_e32 v15, v56, v4
	s_waitcnt lgkmcnt(3)
	v_sub_f32_e32 v20, v16, v56
	s_waitcnt lgkmcnt(2)
	v_sub_f32_e32 v22, v8, v4
	s_waitcnt lgkmcnt(0)
	v_add_f32_e32 v25, v76, v68
	v_sub_f32_e32 v13, v60, v64
	v_sub_f32_e32 v23, v17, v57
	v_fma_f32 v99, -0.5, v15, v0
	v_sub_f32_e32 v15, v9, v5
	v_add_f32_e32 v104, v20, v22
	v_add_f32_e32 v22, v25, v72
	v_sub_f32_e32 v14, v69, v73
	v_add_f32_e32 v113, v12, v13
	v_add_f32_e32 v107, v23, v15
	v_sub_f32_e32 v15, v61, v65
	v_add_f32_e32 v12, v22, v64
	v_sub_f32_e32 v112, v16, v8
	v_sub_f32_e32 v109, v56, v4
	;; [unrolled: 1-line block ×3, first 2 shown]
	v_add_f32_e32 v111, v14, v15
	v_add_f32_e32 v110, v12, v60
	;; [unrolled: 1-line block ×4, first 2 shown]
	v_sub_f32_e32 v106, v17, v9
	v_add_f32_e32 v15, v1, v17
	v_add_f32_e32 v21, v57, v5
	v_fma_f32 v108, -0.5, v12, v77
	v_add_f32_e32 v12, v14, v56
	v_sub_f32_e32 v56, v56, v16
	v_add_f32_e32 v14, v15, v57
	v_add_f32_e32 v20, v72, v64
	;; [unrolled: 1-line block ×4, first 2 shown]
	v_sub_f32_e32 v4, v4, v8
	v_sub_f32_e32 v120, v68, v60
	;; [unrolled: 1-line block ×3, first 2 shown]
	v_add_f32_e32 v14, v14, v5
	v_add_f32_e32 v117, v12, v8
	;; [unrolled: 1-line block ×4, first 2 shown]
	v_sub_f32_e32 v64, v64, v60
	v_add_f32_e32 v60, v68, v60
	v_sub_f32_e32 v5, v5, v9
	v_fma_f32 v0, -0.5, v8, v0
	v_add_f32_e32 v13, v23, v73
	v_sub_f32_e32 v122, v73, v65
	v_fma_f32 v60, -0.5, v60, v76
	v_fma_f32 v100, -0.5, v21, v1
	v_fmamk_f32 v8, v105, 0x3f737871, v0
	v_fmac_f32_e32 v0, 0xbf737871, v105
	v_sub_f32_e32 v121, v69, v61
	v_add_f32_e32 v13, v13, v65
	v_sub_f32_e32 v72, v72, v68
	v_fmac_f32_e32 v8, 0xbf167918, v106
	v_fmac_f32_e32 v0, 0x3f167918, v106
	v_fmamk_f32 v68, v122, 0x3f737871, v60
	v_fmac_f32_e32 v60, 0xbf737871, v122
	v_add_f32_e32 v116, v13, v61
	v_fmac_f32_e32 v8, 0x3e9e377a, v4
	v_fmac_f32_e32 v0, 0x3e9e377a, v4
	v_sub_f32_e32 v4, v57, v17
	v_add_f32_e32 v64, v72, v64
	v_fmac_f32_e32 v68, 0xbf167918, v121
	v_fmac_f32_e32 v60, 0x3f167918, v121
	v_sub_f32_e32 v65, v65, v61
	v_add_f32_e32 v4, v4, v5
	v_add_f32_e32 v5, v17, v9
	v_add_f32_e32 v61, v69, v61
	v_fmamk_f32 v21, v112, 0x3f737871, v100
	v_fmamk_f32 v24, v106, 0xbf737871, v99
	v_fmac_f32_e32 v68, 0x3e9e377a, v64
	v_fma_f32 v1, -0.5, v5, v1
	v_fmac_f32_e32 v60, 0x3e9e377a, v64
	v_sub_f32_e32 v64, v73, v69
	v_fma_f32 v61, -0.5, v61, v77
	v_fmac_f32_e32 v100, 0xbf737871, v112
	v_fmamk_f32 v5, v109, 0xbf737871, v1
	v_fmac_f32_e32 v1, 0x3f737871, v109
	v_fmac_f32_e32 v21, 0x3f167918, v109
	;; [unrolled: 1-line block ×3, first 2 shown]
	v_fma_f32 v101, -0.5, v20, v76
	v_fmac_f32_e32 v5, 0x3f167918, v112
	v_fmac_f32_e32 v1, 0xbf167918, v112
	v_add_f32_e32 v64, v64, v65
	v_fmamk_f32 v65, v119, 0xbf737871, v61
	v_fmac_f32_e32 v61, 0x3f737871, v119
	v_fmac_f32_e32 v5, 0x3e9e377a, v4
	;; [unrolled: 1-line block ×7, first 2 shown]
	v_fmamk_f32 v114, v121, 0xbf737871, v101
	v_fmamk_f32 v115, v120, 0x3f737871, v108
	v_fmac_f32_e32 v65, 0x3f167918, v120
	v_fmac_f32_e32 v61, 0xbf167918, v120
	v_mul_f32_e32 v16, 0xbf737871, v5
	v_mul_f32_e32 v17, 0x3e9e377a, v5
	v_fmac_f32_e32 v101, 0x3f737871, v121
	v_mul_f32_e32 v56, 0xbf737871, v1
	v_mul_f32_e32 v57, 0xbe9e377a, v1
	v_fmac_f32_e32 v108, 0xbf737871, v120
	v_fmac_f32_e32 v99, 0x3f167918, v105
	;; [unrolled: 1-line block ×3, first 2 shown]
	v_mul_f32_e32 v102, 0xbf167918, v21
	v_mul_f32_e32 v103, 0x3f167918, v24
	v_fmac_f32_e32 v114, 0xbf167918, v122
	v_fmac_f32_e32 v115, 0x3f167918, v119
	v_mul_u32_u24_e32 v12, 10, v80
	v_fmac_f32_e32 v65, 0x3e9e377a, v64
	v_fmac_f32_e32 v61, 0x3e9e377a, v64
	;; [unrolled: 1-line block ×9, first 2 shown]
	v_mul_f32_e32 v64, 0xbf167918, v100
	v_mul_f32_e32 v69, 0xbf4f1bbd, v100
	v_fmac_f32_e32 v102, 0x3f4f1bbd, v24
	v_fmac_f32_e32 v103, 0x3f4f1bbd, v21
	v_add_f32_e32 v118, v14, v9
	v_fmac_f32_e32 v114, 0x3e9e377a, v113
	v_fmac_f32_e32 v115, 0x3e9e377a, v111
	v_add_nc_u32_e32 v13, 0x4000, v91
	v_lshl_add_u32 v127, v12, 3, 0
	v_add_f32_e32 v0, v68, v16
	v_add_f32_e32 v1, v65, v17
	v_fmac_f32_e32 v101, 0x3e9e377a, v113
	v_add_f32_e32 v4, v60, v56
	v_add_f32_e32 v5, v61, v57
	v_fmac_f32_e32 v108, 0x3e9e377a, v111
	v_fmac_f32_e32 v64, 0xbf4f1bbd, v99
	;; [unrolled: 1-line block ×3, first 2 shown]
	v_add_f32_e32 v123, v110, v117
	v_add_f32_e32 v124, v116, v118
	;; [unrolled: 1-line block ×4, first 2 shown]
	ds_read2_b64 v[12:15], v13 offset0:16 offset1:76
	ds_read2_b64 v[48:51], v91 offset0:120 offset1:180
	;; [unrolled: 1-line block ×4, first 2 shown]
	ds_read2_b64 v[44:47], v81 offset1:60
	ds_read2_b64 v[32:35], v98 offset0:88 offset1:148
	ds_read2_b64 v[36:39], v97 offset0:176 offset1:236
	ds_read2_b64 v[24:27], v90 offset0:136 offset1:196
	ds_read2_b64 v[28:31], v92 offset0:96 offset1:156
	ds_read2_b64 v[20:23], v94 offset0:56 offset1:116
	s_waitcnt lgkmcnt(0)
	s_barrier
	buffer_gl0_inv
	ds_write2_b64 v127, v[0:1], v[4:5] offset0:2 offset1:3
	v_sub_f32_e32 v0, v110, v117
	v_sub_f32_e32 v1, v116, v118
	v_add_f32_e32 v4, v101, v64
	v_add_f32_e32 v5, v108, v69
	v_sub_f32_e32 v56, v60, v56
	v_sub_f32_e32 v60, v101, v64
	v_add_f32_e32 v64, v78, v70
	v_sub_f32_e32 v8, v114, v102
	v_sub_f32_e32 v9, v115, v103
	;; [unrolled: 1-line block ×6, first 2 shown]
	ds_write2_b64 v127, v[123:124], v[125:126] offset1:1
	ds_write2_b64 v127, v[4:5], v[0:1] offset0:4 offset1:5
	ds_write2_b64 v127, v[8:9], v[16:17] offset0:6 offset1:7
	;; [unrolled: 1-line block ×3, first 2 shown]
	v_add_f32_e32 v0, v64, v74
	v_add_f32_e32 v65, v79, v71
	v_sub_f32_e32 v5, v70, v74
	v_sub_f32_e32 v9, v74, v70
	v_add_f32_e32 v61, v70, v62
	v_sub_f32_e32 v64, v70, v62
	v_add_f32_e32 v0, v0, v66
	v_add_f32_e32 v70, v2, v18
	;; [unrolled: 1-line block ×4, first 2 shown]
	v_sub_f32_e32 v17, v74, v66
	v_sub_f32_e32 v68, v62, v66
	;; [unrolled: 1-line block ×3, first 2 shown]
	v_add_f32_e32 v62, v0, v62
	v_add_f32_e32 v0, v70, v58
	v_add_f32_e32 v70, v58, v6
	v_sub_f32_e32 v56, v71, v75
	v_sub_f32_e32 v57, v75, v71
	;; [unrolled: 1-line block ×3, first 2 shown]
	v_add_f32_e32 v65, v71, v63
	v_add_f32_e32 v1, v1, v67
	;; [unrolled: 1-line block ×4, first 2 shown]
	v_sub_f32_e32 v76, v19, v11
	v_fma_f32 v70, -0.5, v70, v2
	v_sub_f32_e32 v8, v75, v67
	v_add_f32_e32 v16, v75, v67
	v_sub_f32_e32 v69, v63, v67
	v_sub_f32_e32 v67, v67, v63
	v_add_f32_e32 v63, v1, v63
	v_add_f32_e32 v1, v71, v59
	v_sub_f32_e32 v71, v59, v7
	v_sub_f32_e32 v72, v18, v58
	v_sub_f32_e32 v73, v58, v18
	v_sub_f32_e32 v75, v19, v59
	v_sub_f32_e32 v59, v59, v19
	v_add_f32_e32 v77, v18, v10
	v_sub_f32_e32 v18, v18, v10
	v_fma_f32 v74, -0.5, v74, v3
	v_add_f32_e32 v19, v19, v11
	v_sub_f32_e32 v101, v10, v6
	v_fmamk_f32 v102, v76, 0xbf737871, v70
	v_sub_f32_e32 v58, v58, v6
	v_sub_f32_e32 v99, v11, v7
	v_fmamk_f32 v100, v18, 0x3f737871, v74
	v_add_f32_e32 v1, v1, v7
	v_add_f32_e32 v72, v72, v101
	v_fmac_f32_e32 v102, 0xbf167918, v71
	v_sub_f32_e32 v7, v7, v11
	v_fmac_f32_e32 v3, -0.5, v19
	v_add_f32_e32 v75, v75, v99
	v_fmac_f32_e32 v100, 0x3f167918, v58
	v_fmac_f32_e32 v102, 0x3e9e377a, v72
	v_add_f32_e32 v68, v5, v68
	v_add_f32_e32 v56, v56, v69
	v_fma_f32 v69, -0.5, v4, v78
	v_fmamk_f32 v4, v58, 0xbf737871, v3
	v_fmac_f32_e32 v3, 0x3f737871, v58
	v_add_f32_e32 v5, v59, v7
	v_fma_f32 v7, -0.5, v77, v2
	v_add_f32_e32 v2, v9, v66
	v_mul_i32_i24_e32 v9, 10, v84
	v_fmac_f32_e32 v74, 0xbf737871, v18
	v_fma_f32 v99, -0.5, v16, v79
	v_add_f32_e32 v0, v0, v6
	v_sub_f32_e32 v6, v6, v10
	v_fmac_f32_e32 v100, 0x3e9e377a, v75
	v_mul_f32_e32 v101, 0x3f167918, v102
	v_fmac_f32_e32 v3, 0xbf167918, v18
	v_fma_f32 v61, -0.5, v61, v78
	v_fmac_f32_e32 v79, -0.5, v65
	v_lshl_add_u32 v65, v9, 3, 0
	v_add_f32_e32 v9, v57, v67
	v_fmamk_f32 v57, v71, 0x3f737871, v7
	v_fmac_f32_e32 v4, 0x3f167918, v18
	v_fmac_f32_e32 v7, 0xbf737871, v71
	;; [unrolled: 1-line block ×4, first 2 shown]
	v_fmamk_f32 v16, v60, 0xbf737871, v69
	v_fmamk_f32 v59, v64, 0x3f737871, v99
	v_mul_f32_e32 v19, 0xbf167918, v100
	v_fmac_f32_e32 v101, 0x3f4f1bbd, v100
	v_fmac_f32_e32 v3, 0x3e9e377a, v5
	v_fmamk_f32 v100, v8, 0x3f737871, v61
	v_fmac_f32_e32 v61, 0xbf737871, v8
	v_add_f32_e32 v6, v73, v6
	v_fmamk_f32 v66, v17, 0xbf737871, v79
	v_fmac_f32_e32 v79, 0x3f737871, v17
	v_fmac_f32_e32 v57, 0xbf167918, v76
	;; [unrolled: 1-line block ×10, first 2 shown]
	v_mul_f32_e32 v77, 0xbf737871, v3
	v_mul_f32_e32 v78, 0xbe9e377a, v3
	v_fmac_f32_e32 v100, 0xbf167918, v60
	v_fmac_f32_e32 v61, 0x3f167918, v60
	;; [unrolled: 1-line block ×5, first 2 shown]
	v_mul_f32_e32 v67, 0xbf737871, v4
	v_mul_f32_e32 v73, 0x3e9e377a, v4
	v_fmac_f32_e32 v7, 0x3e9e377a, v6
	v_fmac_f32_e32 v69, 0x3f167918, v8
	;; [unrolled: 1-line block ×4, first 2 shown]
	v_mul_f32_e32 v58, 0xbf167918, v74
	v_mul_f32_e32 v60, 0xbf4f1bbd, v74
	v_add_f32_e32 v10, v0, v10
	v_add_f32_e32 v11, v1, v11
	v_fmac_f32_e32 v19, 0x3f4f1bbd, v102
	v_fmac_f32_e32 v16, 0x3e9e377a, v68
	;; [unrolled: 1-line block ×15, first 2 shown]
	v_add_f32_e32 v0, v62, v10
	v_add_f32_e32 v1, v63, v11
	v_add_f32_e32 v2, v16, v19
	v_add_f32_e32 v3, v59, v101
	v_add_f32_e32 v4, v100, v67
	v_add_f32_e32 v5, v66, v73
	v_add_f32_e32 v6, v61, v77
	v_add_f32_e32 v7, v79, v78
	v_sub_f32_e32 v8, v62, v10
	v_sub_f32_e32 v9, v63, v11
	v_add_f32_e32 v10, v69, v58
	v_add_f32_e32 v11, v99, v60
	v_sub_f32_e32 v16, v16, v19
	v_sub_f32_e32 v17, v59, v101
	;; [unrolled: 1-line block ×8, first 2 shown]
	ds_write2_b64 v65, v[0:1], v[2:3] offset1:1
	ds_write2_b64 v65, v[4:5], v[6:7] offset0:2 offset1:3
	ds_write2_b64 v65, v[10:11], v[8:9] offset0:4 offset1:5
	;; [unrolled: 1-line block ×4, first 2 shown]
	v_add_f32_e32 v2, v36, v28
	v_add_f32_e32 v0, v37, v29
	v_sub_f32_e32 v8, v45, v13
	v_sub_f32_e32 v3, v44, v36
	;; [unrolled: 1-line block ×3, first 2 shown]
	v_fma_f32 v7, -0.5, v2, v40
	v_fma_f32 v5, -0.5, v0, v41
	v_sub_f32_e32 v6, v44, v12
	v_sub_f32_e32 v0, v45, v37
	;; [unrolled: 1-line block ×3, first 2 shown]
	v_fmamk_f32 v11, v8, 0xbf737871, v7
	v_sub_f32_e32 v16, v37, v29
	v_fmamk_f32 v9, v6, 0x3f737871, v5
	v_sub_f32_e32 v10, v36, v28
	v_add_f32_e32 v18, v0, v2
	v_add_f32_e32 v4, v3, v4
	v_fmac_f32_e32 v11, 0xbf167918, v16
	v_add_f32_e32 v0, v48, v52
	v_fmac_f32_e32 v9, 0x3f167918, v10
	v_sub_f32_e32 v1, v52, v32
	v_sub_f32_e32 v17, v20, v24
	v_fmac_f32_e32 v11, 0x3e9e377a, v4
	v_add_f32_e32 v0, v0, v32
	v_sub_f32_e32 v2, v53, v33
	v_fmac_f32_e32 v9, 0x3e9e377a, v18
	v_sub_f32_e32 v3, v21, v25
	v_mul_f32_e32 v57, 0x3f167918, v11
	v_add_f32_e32 v0, v0, v24
	v_add_f32_e32 v17, v1, v17
	v_mul_f32_e32 v19, 0xbf167918, v9
	v_add_f32_e32 v56, v2, v3
	v_add_f32_e32 v1, v32, v24
	;; [unrolled: 1-line block ×3, first 2 shown]
	v_fmac_f32_e32 v57, 0x3f4f1bbd, v9
	v_add_f32_e32 v9, v0, v20
	v_add_f32_e32 v0, v33, v25
	v_fmac_f32_e32 v19, 0x3f4f1bbd, v11
	v_fma_f32 v58, -0.5, v1, v48
	v_add_f32_e32 v1, v2, v33
	v_sub_f32_e32 v11, v53, v21
	v_add_f32_e32 v2, v40, v44
	v_add_f32_e32 v3, v41, v45
	v_fma_f32 v59, -0.5, v0, v49
	v_sub_f32_e32 v60, v52, v20
	v_fmamk_f32 v61, v11, 0xbf737871, v58
	v_sub_f32_e32 v62, v33, v25
	v_add_f32_e32 v0, v2, v36
	v_add_f32_e32 v2, v3, v37
	v_fmamk_f32 v63, v60, 0x3f737871, v59
	v_sub_f32_e32 v64, v32, v24
	v_add_f32_e32 v1, v1, v25
	v_add_f32_e32 v0, v0, v28
	;; [unrolled: 1-line block ×3, first 2 shown]
	v_fmac_f32_e32 v61, 0xbf167918, v62
	v_fmac_f32_e32 v63, 0x3f167918, v64
	v_add_f32_e32 v65, v1, v21
	v_add_f32_e32 v66, v0, v12
	;; [unrolled: 1-line block ×3, first 2 shown]
	v_fmac_f32_e32 v61, 0x3e9e377a, v17
	v_fmac_f32_e32 v63, 0x3e9e377a, v56
	v_add_f32_e32 v3, v52, v20
	v_mul_i32_i24_e32 v68, 10, v89
	v_add_f32_e32 v0, v9, v66
	v_add_f32_e32 v1, v65, v67
	;; [unrolled: 1-line block ×3, first 2 shown]
	v_fma_f32 v48, -0.5, v3, v48
	v_add_f32_e32 v3, v63, v57
	v_lshl_add_u32 v68, v68, 3, 0
	v_sub_f32_e32 v32, v32, v52
	v_sub_f32_e32 v20, v24, v20
	v_fmamk_f32 v52, v62, 0x3f737871, v48
	v_fmac_f32_e32 v48, 0xbf737871, v62
	ds_write2_b64 v68, v[0:1], v[2:3] offset1:1
	v_add_f32_e32 v1, v45, v13
	v_add_f32_e32 v24, v53, v21
	;; [unrolled: 1-line block ×3, first 2 shown]
	v_fmac_f32_e32 v52, 0xbf167918, v11
	v_sub_f32_e32 v32, v33, v53
	v_sub_f32_e32 v21, v25, v21
	v_fmac_f32_e32 v48, 0x3f167918, v11
	v_add_f32_e32 v2, v44, v12
	v_fma_f32 v1, -0.5, v1, v41
	v_fmac_f32_e32 v52, 0x3e9e377a, v20
	v_add_f32_e32 v0, v32, v21
	v_fmac_f32_e32 v48, 0x3e9e377a, v20
	v_fma_f32 v2, -0.5, v2, v40
	v_sub_f32_e32 v20, v37, v45
	v_sub_f32_e32 v13, v29, v13
	v_fmamk_f32 v21, v10, 0xbf737871, v1
	v_fmac_f32_e32 v1, 0x3f737871, v10
	v_fmac_f32_e32 v5, 0xbf737871, v6
	v_fma_f32 v24, -0.5, v24, v49
	v_sub_f32_e32 v3, v36, v44
	v_sub_f32_e32 v12, v28, v12
	v_fmamk_f32 v28, v16, 0x3f737871, v2
	v_add_f32_e32 v13, v20, v13
	v_fmac_f32_e32 v21, 0x3f167918, v6
	v_fmac_f32_e32 v2, 0xbf737871, v16
	;; [unrolled: 1-line block ×5, first 2 shown]
	v_fmamk_f32 v25, v64, 0xbf737871, v24
	v_fmac_f32_e32 v24, 0x3f737871, v64
	v_add_f32_e32 v3, v3, v12
	v_fmac_f32_e32 v28, 0xbf167918, v8
	v_fmac_f32_e32 v21, 0x3e9e377a, v13
	;; [unrolled: 1-line block ×11, first 2 shown]
	v_mul_f32_e32 v12, 0xbf737871, v21
	v_fmac_f32_e32 v2, 0x3e9e377a, v3
	v_mul_f32_e32 v13, 0x3e9e377a, v21
	v_mul_f32_e32 v20, 0xbf737871, v1
	;; [unrolled: 1-line block ×3, first 2 shown]
	v_fmac_f32_e32 v58, 0x3f167918, v62
	v_fmac_f32_e32 v59, 0xbf167918, v64
	;; [unrolled: 1-line block ×3, first 2 shown]
	v_mul_f32_e32 v16, 0xbf167918, v5
	v_mul_f32_e32 v18, 0xbf4f1bbd, v5
	v_fmac_f32_e32 v25, 0x3e9e377a, v0
	v_fmac_f32_e32 v24, 0x3e9e377a, v0
	;; [unrolled: 1-line block ×10, first 2 shown]
	v_add_f32_e32 v0, v52, v12
	v_add_f32_e32 v1, v25, v13
	;; [unrolled: 1-line block ×4, first 2 shown]
	v_sub_f32_e32 v4, v9, v66
	v_sub_f32_e32 v5, v65, v67
	v_add_f32_e32 v6, v58, v16
	v_add_f32_e32 v7, v59, v18
	v_sub_f32_e32 v8, v61, v19
	v_sub_f32_e32 v9, v63, v57
	;; [unrolled: 1-line block ×8, first 2 shown]
	ds_write2_b64 v68, v[0:1], v[2:3] offset0:2 offset1:3
	ds_write2_b64 v68, v[6:7], v[4:5] offset0:4 offset1:5
	;; [unrolled: 1-line block ×4, first 2 shown]
	v_cmpx_gt_u32_e32 36, v80
	s_cbranch_execz .LBB0_15
; %bb.14:
	v_add_f32_e32 v0, v35, v27
	v_sub_f32_e32 v1, v55, v35
	v_sub_f32_e32 v2, v23, v27
	;; [unrolled: 1-line block ×4, first 2 shown]
	v_fma_f32 v6, -0.5, v0, v51
	v_sub_f32_e32 v0, v54, v22
	v_add_f32_e32 v2, v1, v2
	v_add_f32_e32 v1, v55, v23
	v_add_f32_e32 v25, v46, v14
	v_add_f32_e32 v3, v39, v31
	v_add_f32_e32 v4, v38, v30
	v_sub_f32_e32 v17, v39, v31
	v_add_f32_e32 v7, v7, v9
	v_fmamk_f32 v18, v0, 0xbf737871, v6
	v_sub_f32_e32 v9, v34, v26
	v_sub_f32_e32 v19, v35, v55
	;; [unrolled: 1-line block ×3, first 2 shown]
	v_add_f32_e32 v21, v47, v15
	v_fma_f32 v24, -0.5, v1, v51
	v_fma_f32 v25, -0.5, v25, v42
	v_fmac_f32_e32 v6, 0x3f737871, v0
	v_fma_f32 v8, -0.5, v3, v43
	v_sub_f32_e32 v3, v46, v14
	v_fma_f32 v10, -0.5, v4, v42
	v_sub_f32_e32 v4, v47, v15
	v_fmac_f32_e32 v18, 0xbf167918, v9
	v_add_f32_e32 v19, v19, v20
	v_fma_f32 v20, -0.5, v21, v43
	v_fmamk_f32 v21, v9, 0x3f737871, v24
	v_sub_f32_e32 v28, v39, v47
	v_sub_f32_e32 v29, v31, v15
	;; [unrolled: 1-line block ×4, first 2 shown]
	v_fmamk_f32 v37, v17, 0xbf737871, v25
	v_fmac_f32_e32 v25, 0x3f737871, v17
	v_fmac_f32_e32 v24, 0xbf737871, v9
	;; [unrolled: 1-line block ×3, first 2 shown]
	v_fmamk_f32 v11, v3, 0xbf737871, v8
	v_sub_f32_e32 v12, v38, v30
	v_fmamk_f32 v16, v4, 0x3f737871, v10
	v_fmac_f32_e32 v18, 0x3e9e377a, v2
	v_add_f32_e32 v28, v28, v29
	v_fmac_f32_e32 v21, 0xbf167918, v0
	v_add_f32_e32 v29, v33, v36
	v_fmac_f32_e32 v37, 0x3f167918, v4
	v_fmac_f32_e32 v25, 0xbf167918, v4
	;; [unrolled: 1-line block ×5, first 2 shown]
	v_add_f32_e32 v0, v34, v26
	v_fmac_f32_e32 v6, 0x3e9e377a, v2
	v_add_f32_e32 v2, v51, v55
	v_add_f32_e32 v4, v43, v47
	v_sub_f32_e32 v5, v46, v38
	v_sub_f32_e32 v13, v14, v30
	v_fmac_f32_e32 v11, 0xbf167918, v12
	v_fmamk_f32 v32, v12, 0x3f737871, v20
	v_fmac_f32_e32 v20, 0xbf737871, v12
	v_fmac_f32_e32 v37, 0x3e9e377a, v29
	;; [unrolled: 1-line block ×4, first 2 shown]
	v_fma_f32 v29, -0.5, v0, v50
	v_add_f32_e32 v0, v2, v35
	v_add_f32_e32 v2, v4, v39
	;; [unrolled: 1-line block ×4, first 2 shown]
	v_fmac_f32_e32 v11, 0x3e9e377a, v7
	v_fmac_f32_e32 v21, 0x3e9e377a, v19
	;; [unrolled: 1-line block ×6, first 2 shown]
	v_sub_f32_e32 v4, v54, v34
	v_sub_f32_e32 v7, v22, v26
	;; [unrolled: 1-line block ×3, first 2 shown]
	v_add_f32_e32 v0, v0, v27
	v_add_f32_e32 v2, v2, v31
	v_fma_f32 v31, -0.5, v9, v50
	v_fmac_f32_e32 v16, 0x3f167918, v17
	v_mul_f32_e32 v13, 0xbf4f1bbd, v11
	v_fmac_f32_e32 v32, 0xbf167918, v3
	v_fmac_f32_e32 v20, 0x3e9e377a, v28
	v_fmac_f32_e32 v10, 0x3e9e377a, v5
	v_sub_f32_e32 v17, v55, v23
	v_add_f32_e32 v27, v4, v7
	v_add_f32_e32 v23, v0, v23
	;; [unrolled: 1-line block ×3, first 2 shown]
	v_mul_f32_e32 v35, 0xbf167918, v11
	v_sub_f32_e32 v0, v34, v54
	v_sub_f32_e32 v4, v26, v22
	v_fmamk_f32 v39, v19, 0xbf737871, v31
	v_fmac_f32_e32 v31, 0x3f737871, v19
	v_add_f32_e32 v11, v50, v54
	v_add_f32_e32 v15, v42, v46
	v_fmac_f32_e32 v32, 0x3e9e377a, v28
	v_mul_f32_e32 v28, 0x3e9e377a, v20
	v_mul_f32_e32 v12, 0x3f167918, v10
	v_fmamk_f32 v36, v17, 0x3f737871, v29
	v_add_f32_e32 v4, v0, v4
	v_fmac_f32_e32 v39, 0x3f167918, v17
	v_fmac_f32_e32 v31, 0xbf167918, v17
	v_add_f32_e32 v11, v11, v34
	v_add_f32_e32 v15, v15, v38
	v_mul_f32_e32 v20, 0xbf737871, v20
	v_fmac_f32_e32 v29, 0xbf737871, v17
	v_fmac_f32_e32 v16, 0x3e9e377a, v5
	v_mul_f32_e32 v33, 0xbe9e377a, v32
	v_fmac_f32_e32 v28, 0x3f737871, v25
	v_fmac_f32_e32 v12, 0x3f4f1bbd, v8
	;; [unrolled: 1-line block ×4, first 2 shown]
	v_add_f32_e32 v4, v11, v26
	v_add_f32_e32 v11, v15, v30
	v_fmac_f32_e32 v20, 0x3e9e377a, v25
	v_fmac_f32_e32 v29, 0xbf167918, v19
	v_mul_f32_e32 v25, 0xbf167918, v8
	v_mul_f32_e32 v32, 0xbf737871, v32
	v_fmac_f32_e32 v36, 0x3f167918, v19
	v_fmac_f32_e32 v13, 0x3f167918, v16
	v_fmac_f32_e32 v33, 0x3f737871, v37
	v_sub_f32_e32 v7, v6, v12
	v_add_f32_e32 v22, v4, v22
	v_add_f32_e32 v14, v11, v14
	v_fmac_f32_e32 v29, 0x3e9e377a, v27
	v_fmac_f32_e32 v25, 0x3f4f1bbd, v10
	v_add_f32_e32 v17, v6, v12
	v_mul_i32_i24_e32 v6, 10, v88
	v_fmac_f32_e32 v32, 0xbe9e377a, v37
	v_fmac_f32_e32 v36, 0x3e9e377a, v27
	;; [unrolled: 1-line block ×3, first 2 shown]
	v_sub_f32_e32 v1, v18, v13
	v_sub_f32_e32 v3, v21, v33
	v_add_f32_e32 v11, v18, v13
	v_add_f32_e32 v13, v21, v33
	v_add_f32_e32 v19, v23, v2
	v_add_f32_e32 v16, v29, v25
	v_add_f32_e32 v18, v22, v14
	v_lshl_add_u32 v21, v6, 3, 0
	v_sub_f32_e32 v8, v22, v14
	v_add_f32_e32 v15, v24, v28
	v_add_f32_e32 v12, v39, v32
	;; [unrolled: 1-line block ×3, first 2 shown]
	v_sub_f32_e32 v9, v23, v2
	v_add_f32_e32 v10, v36, v35
	v_sub_f32_e32 v5, v24, v28
	v_sub_f32_e32 v4, v31, v20
	;; [unrolled: 1-line block ×5, first 2 shown]
	ds_write2_b64 v21, v[18:19], v[16:17] offset1:1
	ds_write2_b64 v21, v[14:15], v[12:13] offset0:2 offset1:3
	ds_write2_b64 v21, v[10:11], v[8:9] offset0:4 offset1:5
	;; [unrolled: 1-line block ×4, first 2 shown]
.LBB0_15:
	s_or_b32 exec_lo, exec_lo, s1
	v_and_b32_e32 v0, 0xff, v84
	v_and_b32_e32 v6, 0xff, v89
	v_mov_b32_e32 v4, 5
	v_and_b32_e32 v8, 0xff, v88
	v_add_nc_u32_e32 v13, 0xf0, v80
	v_mul_lo_u16 v0, 0xcd, v0
	v_mul_lo_u16 v1, 0xcd, v6
	v_mov_b32_e32 v9, 0xcccd
	v_mul_lo_u16 v7, 0xcd, v8
	s_waitcnt lgkmcnt(0)
	v_lshrrev_b16 v21, 11, v0
	v_lshrrev_b16 v19, 11, v1
	v_mul_u32_u24_sdwa v10, v13, v9 dst_sel:DWORD dst_unused:UNUSED_PAD src0_sel:WORD_0 src1_sel:DWORD
	v_lshrrev_b16 v23, 11, v7
	s_barrier
	v_mul_lo_u16 v0, v21, 10
	v_mul_lo_u16 v1, v19, 10
	buffer_gl0_inv
	v_lshrrev_b32_e32 v15, 19, v10
	v_mul_lo_u16 v7, v23, 10
	v_sub_nc_u16 v22, v84, v0
	v_sub_nc_u16 v20, v89, v1
	v_and_b32_e32 v14, 0xff, v80
	v_mul_lo_u16 v10, v15, 10
	v_sub_nc_u16 v24, v88, v7
	v_mul_u32_u24_sdwa v0, v22, v4 dst_sel:DWORD dst_unused:UNUSED_PAD src0_sel:BYTE_0 src1_sel:DWORD
	v_mul_u32_u24_sdwa v1, v20, v4 dst_sel:DWORD dst_unused:UNUSED_PAD src0_sel:BYTE_0 src1_sel:DWORD
	v_mul_lo_u16 v8, 0x89, v8
	v_sub_nc_u16 v16, v13, v10
	v_mul_u32_u24_sdwa v7, v24, v4 dst_sel:DWORD dst_unused:UNUSED_PAD src0_sel:BYTE_0 src1_sel:DWORD
	v_lshlrev_b32_e32 v5, 3, v0
	v_lshlrev_b32_e32 v11, 3, v1
	v_lshrrev_b16 v8, 13, v8
	v_mul_u32_u24_sdwa v10, v16, v4 dst_sel:DWORD dst_unused:UNUSED_PAD src0_sel:WORD_0 src1_sel:DWORD
	v_lshlrev_b32_e32 v12, 3, v7
	s_clause 0x3
	global_load_dwordx4 v[0:3], v5, s[12:13]
	global_load_dwordx4 v[31:34], v5, s[12:13] offset:16
	global_load_dwordx4 v[27:30], v11, s[12:13]
	global_load_dwordx4 v[35:38], v11, s[12:13] offset:16
	v_add_nc_u32_e32 v7, 0x12c, v80
	v_lshlrev_b32_e32 v39, 3, v10
	v_mul_lo_u16 v10, 0xcd, v14
	s_clause 0x1
	global_load_dwordx4 v[42:45], v12, s[12:13]
	global_load_dwordx4 v[50:53], v12, s[12:13] offset:16
	v_mul_u32_u24_sdwa v9, v7, v9 dst_sel:DWORD dst_unused:UNUSED_PAD src0_sel:WORD_0 src1_sel:DWORD
	s_clause 0x1
	global_load_dwordx4 v[46:49], v39, s[12:13]
	global_load_dwordx4 v[54:57], v39, s[12:13] offset:16
	v_lshrrev_b16 v25, 11, v10
	v_mul_u32_u24_e32 v15, 0x1e0, v15
	v_lshrrev_b32_e32 v17, 19, v9
	s_add_u32 s1, s12, 0x4330
	s_addc_u32 s4, s13, 0
	v_mul_lo_u16 v9, v25, 10
	s_mov_b32 s5, exec_lo
	v_mul_lo_u16 v10, v17, 10
	v_sub_nc_u16 v26, v80, v9
	v_sub_nc_u16 v18, v7, v10
	v_mul_u32_u24_sdwa v9, v26, v4 dst_sel:DWORD dst_unused:UNUSED_PAD src0_sel:BYTE_0 src1_sel:DWORD
	v_mul_u32_u24_sdwa v4, v18, v4 dst_sel:DWORD dst_unused:UNUSED_PAD src0_sel:WORD_0 src1_sel:DWORD
	v_lshlrev_b32_e32 v14, 3, v9
	v_lshlrev_b32_e32 v4, 3, v4
	s_clause 0x9
	global_load_dwordx2 v[9:10], v14, s[12:13] offset:32
	global_load_dwordx4 v[58:61], v4, s[12:13] offset:16
	global_load_dwordx2 v[78:79], v5, s[12:13] offset:32
	global_load_dwordx4 v[62:65], v14, s[12:13] offset:16
	global_load_dwordx2 v[115:116], v11, s[12:13] offset:32
	global_load_dwordx4 v[66:69], v4, s[12:13]
	global_load_dwordx4 v[70:73], v14, s[12:13]
	global_load_dwordx2 v[117:118], v12, s[12:13] offset:32
	global_load_dwordx2 v[119:120], v39, s[12:13] offset:32
	;; [unrolled: 1-line block ×3, first 2 shown]
	ds_read2_b64 v[74:77], v95 offset0:164 offset1:224
	ds_read2_b64 v[99:102], v81 offset0:12 offset1:72
	;; [unrolled: 1-line block ×5, first 2 shown]
	v_add_nc_u32_e32 v14, 0x2400, v91
	v_add_nc_u32_e32 v12, 0x3400, v91
	s_waitcnt vmcnt(17) lgkmcnt(4)
	v_mul_f32_e32 v41, v75, v1
	v_mul_f32_e32 v1, v74, v1
	s_waitcnt lgkmcnt(3)
	v_mul_f32_e32 v4, v100, v3
	v_mul_f32_e32 v3, v99, v3
	s_waitcnt vmcnt(15)
	v_mul_f32_e32 v11, v76, v28
	v_fmac_f32_e32 v41, v74, v0
	v_fma_f32 v123, v75, v0, -v1
	v_fmac_f32_e32 v4, v99, v2
	v_fma_f32 v124, v100, v2, -v3
	ds_read2_b64 v[0:3], v81 offset0:132 offset1:192
	v_mul_f32_e32 v5, v77, v28
	v_mul_f32_e32 v125, v102, v30
	;; [unrolled: 1-line block ×3, first 2 shown]
	v_fma_f32 v126, v77, v27, -v11
	s_waitcnt lgkmcnt(3)
	v_mul_f32_e32 v128, v104, v32
	v_mul_f32_e32 v11, v103, v32
	v_fmac_f32_e32 v5, v76, v27
	v_fmac_f32_e32 v125, v101, v29
	v_fma_f32 v127, v102, v29, -v28
	ds_read2_b64 v[74:77], v92 offset0:84 offset1:144
	s_waitcnt lgkmcnt(3)
	v_mul_f32_e32 v129, v108, v34
	v_mul_f32_e32 v27, v107, v34
	s_waitcnt vmcnt(14)
	v_mul_f32_e32 v28, v105, v36
	v_mul_f32_e32 v131, v110, v38
	v_fmac_f32_e32 v128, v103, v31
	v_fma_f32 v132, v104, v31, -v11
	v_mul_f32_e32 v11, v109, v38
	ds_read2_b64 v[29:32], v14 offset0:108 offset1:168
	v_fmac_f32_e32 v129, v107, v33
	v_fma_f32 v107, v108, v33, -v27
	v_fma_f32 v108, v106, v35, -v28
	v_fmac_f32_e32 v131, v109, v37
	v_fma_f32 v109, v110, v37, -v11
	ds_read2_b64 v[99:102], v12 offset0:76 offset1:136
	s_waitcnt vmcnt(13) lgkmcnt(4)
	v_mul_f32_e32 v110, v112, v43
	v_mul_f32_e32 v11, v111, v43
	s_waitcnt lgkmcnt(3)
	v_mul_f32_e32 v133, v1, v45
	v_mul_f32_e32 v28, v0, v45
	s_waitcnt vmcnt(11)
	v_mul_f32_e32 v27, v114, v47
	v_mul_f32_e32 v33, v113, v47
	;; [unrolled: 1-line block ×3, first 2 shown]
	v_fmac_f32_e32 v110, v111, v42
	v_fma_f32 v111, v112, v42, -v11
	v_fmac_f32_e32 v133, v0, v44
	v_fma_f32 v112, v1, v44, -v28
	;; [unrolled: 2-line block ×3, first 2 shown]
	ds_read2_b64 v[44:47], v90 offset0:100 offset1:160
	v_fmac_f32_e32 v130, v105, v35
	v_mul_f32_e32 v0, v2, v49
	ds_read2_b64 v[103:106], v94 offset0:68 offset1:128
	v_mul_f32_e32 v34, v3, v49
	s_waitcnt lgkmcnt(3)
	v_mul_f32_e32 v113, v30, v51
	s_waitcnt vmcnt(10)
	v_mul_f32_e32 v11, v76, v57
	v_fma_f32 v37, v3, v48, -v0
	v_mul_f32_e32 v0, v29, v51
	v_fmac_f32_e32 v34, v2, v48
	v_fmac_f32_e32 v113, v29, v50
	v_fma_f32 v40, v77, v56, -v11
	s_waitcnt vmcnt(8) lgkmcnt(2)
	v_mul_f32_e32 v11, v99, v61
	v_fma_f32 v134, v30, v50, -v0
	ds_read2_b64 v[48:51], v98 offset0:124 offset1:184
	v_mul_f32_e32 v114, v75, v53
	v_mul_f32_e32 v1, v74, v53
	;; [unrolled: 1-line block ×4, first 2 shown]
	v_fma_f32 v30, v100, v60, -v11
	s_waitcnt lgkmcnt(2)
	v_mul_f32_e32 v11, v44, v59
	v_mul_f32_e32 v43, v77, v57
	v_fmac_f32_e32 v114, v74, v52
	v_fma_f32 v74, v75, v52, -v1
	v_fmac_f32_e32 v36, v31, v54
	v_fma_f32 v38, v32, v54, -v2
	ds_read2_b64 v[52:55], v85 offset0:148 offset1:208
	v_mul_f32_e32 v29, v45, v59
	s_waitcnt vmcnt(7) lgkmcnt(2)
	v_mul_f32_e32 v77, v104, v79
	v_fma_f32 v31, v45, v58, -v11
	v_mul_f32_e32 v11, v103, v79
	ds_read2_b64 v[0:3], v95 offset0:44 offset1:104
	v_fmac_f32_e32 v43, v76, v56
	v_mul_f32_e32 v32, v100, v61
	v_fmac_f32_e32 v29, v44, v58
	s_waitcnt vmcnt(6)
	v_mul_f32_e32 v79, v47, v65
	s_waitcnt vmcnt(5)
	v_mul_f32_e32 v33, v105, v116
	v_fmac_f32_e32 v77, v103, v78
	v_fma_f32 v78, v104, v78, -v11
	v_mul_f32_e32 v11, v46, v65
	ds_read2_b64 v[56:59], v94 offset0:188 offset1:248
	v_fmac_f32_e32 v32, v99, v60
	v_mul_f32_e32 v99, v106, v116
	v_fma_f32 v65, v106, v115, -v33
	s_waitcnt lgkmcnt(3)
	v_mul_f32_e32 v100, v51, v63
	v_mul_f32_e32 v33, v50, v63
	v_fmac_f32_e32 v79, v46, v64
	v_fma_f32 v64, v47, v64, -v11
	ds_read_b64 v[44:45], v91 offset:16800
	s_waitcnt vmcnt(4)
	v_mul_f32_e32 v11, v48, v69
	v_mul_f32_e32 v75, v102, v10
	;; [unrolled: 1-line block ×3, first 2 shown]
	v_fmac_f32_e32 v99, v105, v115
	v_mul_f32_e32 v39, v49, v69
	v_fmac_f32_e32 v100, v50, v62
	v_fma_f32 v69, v51, v62, -v33
	ds_read2_b64 v[60:63], v91 offset1:240
	v_fma_f32 v115, v49, v68, -v11
	v_lshl_add_u32 v11, v84, 3, 0
	v_fmac_f32_e32 v75, v101, v9
	v_fma_f32 v76, v102, v9, -v10
	v_lshl_add_u32 v9, v88, 3, 0
	s_waitcnt lgkmcnt(4)
	v_mul_f32_e32 v33, v53, v67
	v_fmac_f32_e32 v39, v48, v68
	ds_read_b64 v[48:49], v11
	v_mul_f32_e32 v35, v52, v67
	v_lshl_add_u32 v10, v89, 3, 0
	s_waitcnt vmcnt(3)
	v_mul_f32_e32 v67, v55, v73
	v_mul_f32_e32 v42, v54, v73
	v_fmac_f32_e32 v33, v52, v66
	v_fma_f32 v35, v53, v66, -v35
	ds_read_b64 v[46:47], v9
	s_waitcnt lgkmcnt(5)
	v_mul_f32_e32 v66, v3, v71
	v_mul_f32_e32 v50, v2, v71
	s_waitcnt vmcnt(2) lgkmcnt(4)
	v_mul_f32_e32 v51, v56, v118
	s_waitcnt vmcnt(1)
	v_mul_f32_e32 v116, v59, v120
	v_fmac_f32_e32 v67, v54, v72
	v_fma_f32 v52, v55, v72, -v42
	v_mul_f32_e32 v53, v57, v118
	v_fmac_f32_e32 v66, v2, v70
	v_fma_f32 v68, v3, v70, -v50
	v_mul_f32_e32 v2, v58, v120
	s_waitcnt vmcnt(0) lgkmcnt(3)
	v_mul_f32_e32 v42, v45, v122
	v_mul_f32_e32 v3, v44, v122
	v_fma_f32 v54, v57, v117, -v51
	ds_read_b64 v[50:51], v10
	v_fmac_f32_e32 v116, v58, v119
	v_add_f32_e32 v58, v100, v75
	v_fmac_f32_e32 v53, v56, v117
	v_fma_f32 v117, v59, v119, -v2
	v_fmac_f32_e32 v42, v44, v121
	v_fma_f32 v44, v45, v121, -v3
	s_waitcnt lgkmcnt(3)
	v_add_f32_e32 v2, v60, v67
	v_add_f32_e32 v3, v67, v79
	;; [unrolled: 1-line block ×3, first 2 shown]
	v_sub_f32_e32 v56, v67, v79
	v_add_f32_e32 v57, v66, v100
	v_sub_f32_e32 v59, v69, v76
	v_add_f32_e32 v67, v68, v69
	v_add_f32_e32 v69, v69, v76
	v_fmac_f32_e32 v66, -0.5, v58
	v_add_f32_e32 v58, v128, v77
	v_sub_f32_e32 v45, v52, v64
	v_add_f32_e32 v52, v52, v64
	v_sub_f32_e32 v70, v100, v75
	v_add_f32_e32 v55, v55, v64
	s_waitcnt lgkmcnt(2)
	v_add_f32_e32 v64, v49, v124
	v_add_f32_e32 v57, v57, v75
	;; [unrolled: 1-line block ×3, first 2 shown]
	v_fmac_f32_e32 v68, -0.5, v69
	v_add_f32_e32 v69, v123, v132
	v_add_f32_e32 v100, v132, v78
	v_fmac_f32_e32 v41, -0.5, v58
	v_add_f32_e32 v58, v5, v130
	v_add_f32_e32 v2, v2, v79
	v_sub_f32_e32 v73, v124, v107
	v_add_f32_e32 v79, v124, v107
	v_add_f32_e32 v67, v67, v76
	v_sub_f32_e32 v76, v132, v78
	v_add_f32_e32 v64, v64, v107
	v_add_f32_e32 v69, v69, v78
	;; [unrolled: 1-line block ×3, first 2 shown]
	v_fmac_f32_e32 v123, -0.5, v100
	v_sub_f32_e32 v100, v108, v65
	v_add_f32_e32 v106, v126, v108
	v_add_f32_e32 v107, v108, v65
	v_sub_f32_e32 v108, v130, v99
	v_add_f32_e32 v99, v58, v99
	s_waitcnt lgkmcnt(1)
	v_add_f32_e32 v58, v47, v112
	v_add_f32_e32 v71, v48, v4
	v_sub_f32_e32 v101, v128, v77
	v_add_f32_e32 v75, v75, v77
	s_waitcnt lgkmcnt(0)
	v_add_f32_e32 v77, v51, v127
	v_add_f32_e32 v104, v127, v109
	v_sub_f32_e32 v118, v112, v74
	v_fmac_f32_e32 v5, -0.5, v78
	v_add_f32_e32 v78, v112, v74
	v_add_f32_e32 v119, v58, v74
	;; [unrolled: 1-line block ×6, first 2 shown]
	v_fmac_f32_e32 v49, -0.5, v79
	v_sub_f32_e32 v79, v127, v109
	v_add_f32_e32 v77, v77, v109
	v_add_f32_e32 v109, v46, v133
	v_fmac_f32_e32 v51, -0.5, v104
	v_add_f32_e32 v104, v133, v114
	v_add_f32_e32 v65, v106, v65
	;; [unrolled: 1-line block ×3, first 2 shown]
	v_fmac_f32_e32 v126, -0.5, v107
	v_add_f32_e32 v107, v113, v53
	v_add_f32_e32 v58, v111, v134
	v_sub_f32_e32 v113, v113, v53
	v_fma_f32 v120, -0.5, v3, v60
	v_fma_f32 v121, -0.5, v52, v61
	v_fmac_f32_e32 v111, -0.5, v74
	v_fmamk_f32 v61, v70, 0x3f5db3d7, v68
	v_fmac_f32_e32 v68, 0xbf5db3d7, v70
	v_fmamk_f32 v70, v101, 0x3f5db3d7, v123
	v_fmac_f32_e32 v123, 0xbf5db3d7, v101
	v_add_f32_e32 v103, v125, v131
	v_sub_f32_e32 v105, v125, v131
	v_add_f32_e32 v102, v102, v131
	v_sub_f32_e32 v112, v133, v114
	;; [unrolled: 2-line block ×3, first 2 shown]
	v_fma_f32 v48, -0.5, v72, v48
	v_fma_f32 v122, -0.5, v104, v46
	v_add_f32_e32 v106, v106, v53
	v_fmac_f32_e32 v110, -0.5, v107
	v_add_f32_e32 v124, v58, v54
	v_fmamk_f32 v72, v45, 0xbf5db3d7, v120
	v_fmac_f32_e32 v120, 0x3f5db3d7, v45
	v_fmamk_f32 v74, v56, 0x3f5db3d7, v121
	v_fmac_f32_e32 v121, 0xbf5db3d7, v56
	v_add_f32_e32 v45, v2, v57
	v_add_f32_e32 v46, v55, v67
	v_sub_f32_e32 v52, v2, v57
	v_sub_f32_e32 v53, v55, v67
	v_fmamk_f32 v67, v76, 0xbf5db3d7, v41
	v_fmac_f32_e32 v41, 0x3f5db3d7, v76
	v_add_f32_e32 v54, v71, v75
	v_add_f32_e32 v55, v64, v69
	v_sub_f32_e32 v56, v71, v75
	v_sub_f32_e32 v57, v64, v69
	v_fmamk_f32 v64, v100, 0xbf5db3d7, v5
	v_fmac_f32_e32 v5, 0x3f5db3d7, v100
	v_fmamk_f32 v69, v108, 0x3f5db3d7, v126
	v_fmamk_f32 v71, v113, 0x3f5db3d7, v111
	v_mul_f32_e32 v100, 0xbf5db3d7, v123
	v_mul_f32_e32 v104, -0.5, v123
	v_fma_f32 v50, -0.5, v103, v50
	v_fmac_f32_e32 v47, -0.5, v78
	v_fmamk_f32 v60, v59, 0xbf5db3d7, v66
	v_fmac_f32_e32 v66, 0x3f5db3d7, v59
	v_fmamk_f32 v103, v105, 0x3f5db3d7, v51
	v_fmac_f32_e32 v51, 0xbf5db3d7, v105
	v_fmac_f32_e32 v126, 0xbf5db3d7, v108
	v_add_f32_e32 v58, v102, v99
	v_add_f32_e32 v59, v77, v65
	v_sub_f32_e32 v2, v102, v99
	v_sub_f32_e32 v3, v77, v65
	v_fmamk_f32 v65, v114, 0xbf5db3d7, v110
	v_mul_f32_e32 v75, 0xbf5db3d7, v61
	v_mul_f32_e32 v76, 0.5, v61
	v_mul_f32_e32 v99, 0xbf5db3d7, v70
	v_mul_f32_e32 v105, 0xbf5db3d7, v69
	v_fmac_f32_e32 v100, -0.5, v41
	v_fmac_f32_e32 v104, 0x3f5db3d7, v41
	v_mul_f32_e32 v41, 0xbf5db3d7, v71
	v_fmamk_f32 v78, v73, 0xbf5db3d7, v48
	v_fmamk_f32 v101, v79, 0xbf5db3d7, v50
	;; [unrolled: 1-line block ×4, first 2 shown]
	v_fmac_f32_e32 v47, 0xbf5db3d7, v112
	v_fmac_f32_e32 v111, 0xbf5db3d7, v113
	v_fmac_f32_e32 v75, 0.5, v60
	v_fmac_f32_e32 v76, 0x3f5db3d7, v60
	v_fmac_f32_e32 v99, 0.5, v67
	v_mul_f32_e32 v112, 0xbf5db3d7, v126
	v_mul_f32_e32 v113, 0.5, v69
	v_fmac_f32_e32 v105, 0.5, v64
	v_mul_f32_e32 v123, 0.5, v71
	v_fmac_f32_e32 v41, 0.5, v65
	v_sub_f32_e32 v4, v4, v129
	v_fmac_f32_e32 v50, 0x3f5db3d7, v79
	v_fmac_f32_e32 v122, 0x3f5db3d7, v118
	;; [unrolled: 1-line block ×3, first 2 shown]
	v_mul_f32_e32 v102, 0.5, v70
	v_fmac_f32_e32 v113, 0x3f5db3d7, v64
	v_mul_f32_e32 v118, 0xbf5db3d7, v111
	v_mul_f32_e32 v111, -0.5, v111
	v_fmac_f32_e32 v112, -0.5, v5
	v_fmac_f32_e32 v123, 0x3f5db3d7, v65
	v_add_f32_e32 v60, v72, v75
	v_add_f32_e32 v61, v74, v76
	v_sub_f32_e32 v64, v72, v75
	v_sub_f32_e32 v65, v74, v76
	v_add_f32_e32 v70, v78, v99
	v_sub_f32_e32 v72, v78, v99
	v_add_f32_e32 v76, v101, v105
	;; [unrolled: 2-line block ×4, first 2 shown]
	v_fmac_f32_e32 v48, 0x3f5db3d7, v73
	v_fmamk_f32 v73, v4, 0x3f5db3d7, v49
	v_fmac_f32_e32 v49, 0xbf5db3d7, v4
	v_fmac_f32_e32 v111, 0x3f5db3d7, v110
	v_add_f32_e32 v78, v50, v112
	v_sub_f32_e32 v50, v50, v112
	v_add_f32_e32 v112, v62, v34
	v_fma_f32 v62, -0.5, v41, v62
	v_sub_f32_e32 v41, v37, v40
	v_mul_f32_e32 v79, -0.5, v68
	v_mul_f32_e32 v114, -0.5, v126
	v_fmac_f32_e32 v118, -0.5, v110
	v_add_f32_e32 v75, v49, v104
	v_sub_f32_e32 v49, v49, v104
	v_add_f32_e32 v104, v47, v111
	v_sub_f32_e32 v110, v47, v111
	v_add_f32_e32 v47, v37, v40
	v_add_f32_e32 v111, v112, v43
	;; [unrolled: 1-line block ×3, first 2 shown]
	v_sub_f32_e32 v34, v34, v43
	v_fmamk_f32 v43, v41, 0xbf5db3d7, v62
	v_fmac_f32_e32 v62, 0x3f5db3d7, v41
	v_add_f32_e32 v41, v38, v117
	v_fmac_f32_e32 v79, 0x3f5db3d7, v66
	v_fmac_f32_e32 v114, 0x3f5db3d7, v5
	v_fmac_f32_e32 v63, -0.5, v47
	v_add_f32_e32 v47, v37, v40
	v_add_f32_e32 v37, v36, v116
	;; [unrolled: 1-line block ×3, first 2 shown]
	v_fmac_f32_e32 v28, -0.5, v41
	v_sub_f32_e32 v41, v36, v116
	v_fmac_f32_e32 v102, 0x3f5db3d7, v67
	v_add_f32_e32 v67, v121, v79
	v_sub_f32_e32 v69, v121, v79
	v_add_f32_e32 v79, v51, v114
	v_sub_f32_e32 v51, v51, v114
	v_fmamk_f32 v114, v34, 0x3f5db3d7, v63
	v_add_f32_e32 v36, v27, v36
	v_fmac_f32_e32 v27, -0.5, v37
	v_sub_f32_e32 v37, v38, v117
	v_fmac_f32_e32 v63, 0xbf5db3d7, v34
	v_fmamk_f32 v34, v41, 0x3f5db3d7, v28
	v_mul_f32_e32 v77, 0xbf5db3d7, v68
	v_fmac_f32_e32 v28, 0xbf5db3d7, v41
	v_add_f32_e32 v38, v36, v116
	v_fmamk_f32 v41, v37, 0xbf5db3d7, v27
	v_mul_f32_e32 v112, 0xbf5db3d7, v34
	v_mul_f32_e32 v34, 0.5, v34
	v_fmac_f32_e32 v77, -0.5, v66
	v_add_f32_e32 v36, v111, v38
	v_sub_f32_e32 v111, v111, v38
	v_add_f32_e32 v38, v39, v32
	v_fmac_f32_e32 v34, 0x3f5db3d7, v41
	v_add_f32_e32 v4, v109, v106
	v_add_f32_e32 v66, v120, v77
	v_sub_f32_e32 v68, v120, v77
	v_add_f32_e32 v74, v48, v100
	v_sub_f32_e32 v48, v48, v100
	;; [unrolled: 2-line block ×4, first 2 shown]
	v_sub_f32_e32 v109, v122, v118
	v_fmac_f32_e32 v27, 0x3f5db3d7, v37
	v_mul_f32_e32 v116, 0xbf5db3d7, v28
	v_add_f32_e32 v117, v40, v117
	v_mul_f32_e32 v118, -0.5, v28
	v_fmac_f32_e32 v112, 0.5, v41
	v_add_f32_e32 v28, v114, v34
	v_sub_f32_e32 v114, v114, v34
	v_add_f32_e32 v34, v0, v39
	v_fma_f32 v0, -0.5, v38, v0
	v_sub_f32_e32 v38, v115, v30
	v_fmac_f32_e32 v116, -0.5, v27
	v_fmac_f32_e32 v118, 0x3f5db3d7, v27
	v_add_f32_e32 v27, v43, v112
	v_add_f32_e32 v37, v47, v117
	v_sub_f32_e32 v113, v43, v112
	v_sub_f32_e32 v112, v47, v117
	v_add_f32_e32 v43, v115, v30
	v_add_f32_e32 v47, v34, v32
	;; [unrolled: 1-line block ×3, first 2 shown]
	v_sub_f32_e32 v32, v39, v32
	v_fmamk_f32 v39, v38, 0xbf5db3d7, v0
	v_fmac_f32_e32 v0, 0x3f5db3d7, v38
	v_add_f32_e32 v38, v31, v44
	v_fmac_f32_e32 v1, -0.5, v43
	v_add_f32_e32 v43, v34, v30
	v_add_f32_e32 v30, v29, v42
	;; [unrolled: 1-line block ×3, first 2 shown]
	v_fmac_f32_e32 v35, -0.5, v38
	v_sub_f32_e32 v38, v29, v42
	v_add_f32_e32 v29, v33, v29
	v_fmac_f32_e32 v33, -0.5, v30
	v_sub_f32_e32 v30, v31, v44
	v_add_f32_e32 v40, v62, v116
	v_fmamk_f32 v31, v38, 0x3f5db3d7, v35
	v_fmac_f32_e32 v35, 0xbf5db3d7, v38
	v_sub_f32_e32 v62, v62, v116
	v_fmamk_f32 v115, v32, 0x3f5db3d7, v1
	v_fmac_f32_e32 v1, 0xbf5db3d7, v32
	v_fmamk_f32 v32, v30, 0xbf5db3d7, v33
	v_fmac_f32_e32 v33, 0x3f5db3d7, v30
	v_mul_f32_e32 v116, 0xbf5db3d7, v35
	v_add_f32_e32 v38, v29, v42
	v_mul_f32_e32 v35, -0.5, v35
	v_mul_f32_e32 v42, 0xbf5db3d7, v31
	v_add_f32_e32 v44, v34, v44
	v_fmac_f32_e32 v116, -0.5, v33
	v_add_f32_e32 v29, v47, v38
	v_fmac_f32_e32 v35, 0x3f5db3d7, v33
	v_sub_f32_e32 v38, v47, v38
	v_mov_b32_e32 v47, 0x1e0
	v_add_f32_e32 v33, v0, v116
	v_sub_f32_e32 v0, v0, v116
	v_mov_b32_e32 v116, 3
	v_fmac_f32_e32 v42, 0.5, v32
	v_mul_u32_u24_sdwa v25, v25, v47 dst_sel:DWORD dst_unused:UNUSED_PAD src0_sel:WORD_0 src1_sel:DWORD
	v_mul_u32_u24_sdwa v21, v21, v47 dst_sel:DWORD dst_unused:UNUSED_PAD src0_sel:WORD_0 src1_sel:DWORD
	;; [unrolled: 1-line block ×3, first 2 shown]
	v_lshlrev_b32_sdwa v26, v116, v26 dst_sel:DWORD dst_unused:UNUSED_PAD src0_sel:DWORD src1_sel:BYTE_0
	v_lshlrev_b32_sdwa v22, v116, v22 dst_sel:DWORD dst_unused:UNUSED_PAD src0_sel:DWORD src1_sel:BYTE_0
	;; [unrolled: 1-line block ×3, first 2 shown]
	v_add_f32_e32 v71, v73, v102
	v_sub_f32_e32 v73, v73, v102
	v_add3_u32 v25, 0, v25, v26
	v_add3_u32 v21, 0, v21, v22
	;; [unrolled: 1-line block ×3, first 2 shown]
	v_mul_f32_e32 v117, 0.5, v31
	v_add_f32_e32 v31, v39, v42
	v_add_f32_e32 v30, v43, v44
	v_sub_f32_e32 v42, v39, v42
	v_sub_f32_e32 v39, v43, v44
	s_barrier
	buffer_gl0_inv
	ds_write2_b64 v25, v[45:46], v[60:61] offset1:10
	ds_write2_b64 v25, v[66:67], v[52:53] offset0:20 offset1:30
	ds_write2_b64 v25, v[64:65], v[68:69] offset0:40 offset1:50
	ds_write2_b64 v21, v[54:55], v[70:71] offset1:10
	ds_write2_b64 v21, v[74:75], v[56:57] offset0:20 offset1:30
	ds_write2_b64 v21, v[72:73], v[48:49] offset0:40 offset1:50
	ds_write2_b64 v19, v[58:59], v[76:77] offset1:10
	v_mul_u32_u24_sdwa v20, v23, v47 dst_sel:DWORD dst_unused:UNUSED_PAD src0_sel:WORD_0 src1_sel:DWORD
	v_lshlrev_b32_sdwa v21, v116, v24 dst_sel:DWORD dst_unused:UNUSED_PAD src0_sel:DWORD src1_sel:BYTE_0
	v_mov_b32_e32 v44, 0x8889
	v_add_f32_e32 v5, v119, v124
	v_add_f32_e32 v102, v108, v123
	ds_write2_b64 v19, v[78:79], v[2:3] offset0:20 offset1:30
	ds_write2_b64 v19, v[99:100], v[50:51] offset0:40 offset1:50
	v_add3_u32 v2, 0, v20, v21
	v_mul_u32_u24_sdwa v3, v13, v44 dst_sel:DWORD dst_unused:UNUSED_PAD src0_sel:WORD_0 src1_sel:DWORD
	v_lshlrev_b32_sdwa v16, v116, v16 dst_sel:DWORD dst_unused:UNUSED_PAD src0_sel:DWORD src1_sel:WORD_0
	v_sub_f32_e32 v106, v119, v124
	v_sub_f32_e32 v108, v108, v123
	ds_write2_b64 v2, v[4:5], v[101:102] offset1:10
	v_lshrrev_b32_e32 v3, 21, v3
	v_mul_lo_u16 v4, v8, 60
	v_add3_u32 v5, 0, v15, v16
	v_fmac_f32_e32 v117, 0x3f5db3d7, v32
	ds_write2_b64 v2, v[103:104], v[105:106] offset0:20 offset1:30
	v_mul_lo_u16 v3, v3, 60
	v_sub_nc_u16 v4, v88, v4
	v_mul_u32_u24_e32 v8, 0x1e0, v17
	v_lshlrev_b32_sdwa v15, v116, v18 dst_sel:DWORD dst_unused:UNUSED_PAD src0_sel:DWORD src1_sel:WORD_0
	ds_write2_b64 v2, v[107:108], v[109:110] offset0:40 offset1:50
	ds_write2_b64 v5, v[36:37], v[27:28] offset1:10
	v_sub_nc_u16 v2, v13, v3
	v_and_b32_e32 v17, 0xff, v4
	v_add_f32_e32 v41, v63, v118
	v_add_f32_e32 v32, v115, v117
	v_add3_u32 v3, 0, v8, v15
	v_and_b32_e32 v16, 0xffff, v2
	v_mul_u32_u24_e32 v2, 5, v17
	v_sub_f32_e32 v63, v63, v118
	v_add_f32_e32 v34, v1, v35
	v_sub_f32_e32 v43, v115, v117
	v_sub_f32_e32 v1, v1, v35
	ds_write2_b64 v5, v[40:41], v[111:112] offset0:20 offset1:30
	ds_write2_b64 v5, v[113:114], v[62:63] offset0:40 offset1:50
	ds_write2_b64 v3, v[29:30], v[31:32] offset1:10
	ds_write2_b64 v3, v[33:34], v[38:39] offset0:20 offset1:30
	ds_write2_b64 v3, v[42:43], v[0:1] offset0:40 offset1:50
	v_lshlrev_b32_e32 v1, 3, v2
	v_mul_lo_u16 v2, 0x89, v6
	v_mul_u32_u24_e32 v0, 5, v16
	s_waitcnt lgkmcnt(0)
	s_barrier
	buffer_gl0_inv
	v_lshrrev_b16 v2, 13, v2
	v_lshlrev_b32_e32 v0, 3, v0
	s_clause 0x1
	global_load_dwordx4 v[20:23], v1, s[12:13] offset:400
	global_load_dwordx4 v[28:31], v1, s[12:13] offset:416
	v_mul_u32_u24_sdwa v3, v7, v44 dst_sel:DWORD dst_unused:UNUSED_PAD src0_sel:WORD_0 src1_sel:DWORD
	v_mul_lo_u16 v2, v2, 60
	s_clause 0x1
	global_load_dwordx4 v[24:27], v0, s[12:13] offset:400
	global_load_dwordx4 v[32:35], v0, s[12:13] offset:416
	v_mov_b32_e32 v8, 0
	v_lshrrev_b32_e32 v3, 21, v3
	v_sub_nc_u16 v2, v89, v2
	v_and_b32_e32 v19, 0xff, v2
	v_mul_u32_u24_e32 v2, 5, v80
	v_mul_u32_u24_e32 v4, 5, v19
	v_lshlrev_b32_e32 v15, 3, v2
	v_mul_lo_u16 v2, v3, 60
	v_lshlrev_b32_e32 v3, 3, v4
	global_load_dwordx4 v[36:39], v15, s[12:13] offset:400
	v_sub_nc_u16 v2, v7, v2
	global_load_dwordx4 v[40:43], v3, s[12:13] offset:400
	v_and_b32_e32 v18, 0xffff, v2
	v_mul_u32_u24_e32 v2, 5, v18
	v_lshlrev_b32_e32 v2, 3, v2
	s_clause 0x8
	global_load_dwordx4 v[44:47], v2, s[12:13] offset:400
	global_load_dwordx4 v[48:51], v15, s[12:13] offset:416
	;; [unrolled: 1-line block ×3, first 2 shown]
	global_load_dwordx2 v[107:108], v1, s[12:13] offset:432
	global_load_dwordx2 v[109:110], v0, s[12:13] offset:432
	;; [unrolled: 1-line block ×4, first 2 shown]
	global_load_dwordx4 v[56:59], v2, s[12:13] offset:416
	global_load_dwordx2 v[115:116], v2, s[12:13] offset:432
	ds_read2_b64 v[60:63], v85 offset0:28 offset1:88
	ds_read2_b64 v[64:67], v81 offset0:132 offset1:192
	ds_read2_b64 v[4:7], v91 offset1:240
	ds_read2_b64 v[0:3], v95 offset0:44 offset1:104
	ds_read2_b64 v[68:71], v85 offset0:148 offset1:208
	;; [unrolled: 1-line block ×6, first 2 shown]
	s_waitcnt vmcnt(14) lgkmcnt(8)
	v_mul_f32_e32 v117, v61, v21
	v_mul_f32_e32 v118, v60, v21
	s_waitcnt lgkmcnt(7)
	v_mul_f32_e32 v119, v65, v23
	v_mul_f32_e32 v23, v64, v23
	s_waitcnt vmcnt(12)
	v_mul_f32_e32 v21, v63, v25
	v_mul_f32_e32 v25, v62, v25
	v_fmac_f32_e32 v117, v60, v20
	v_fma_f32 v118, v61, v20, -v118
	v_mul_f32_e32 v121, v67, v27
	v_mul_f32_e32 v20, v66, v27
	v_fmac_f32_e32 v119, v64, v22
	v_fma_f32 v120, v65, v22, -v23
	v_fmac_f32_e32 v21, v62, v24
	v_fma_f32 v22, v63, v24, -v25
	ds_read2_b64 v[60:63], v95 offset0:164 offset1:224
	v_fmac_f32_e32 v121, v66, v26
	v_fma_f32 v122, v67, v26, -v20
	ds_read2_b64 v[64:67], v81 offset0:12 offset1:72
	s_waitcnt lgkmcnt(3)
	v_mul_f32_e32 v123, v100, v29
	v_mul_f32_e32 v20, v99, v29
	s_waitcnt lgkmcnt(2)
	v_mul_f32_e32 v124, v104, v31
	v_mul_f32_e32 v23, v103, v31
	s_waitcnt vmcnt(11)
	v_mul_f32_e32 v24, v102, v33
	v_mul_f32_e32 v25, v101, v33
	v_fmac_f32_e32 v123, v99, v28
	v_fma_f32 v99, v100, v28, -v20
	v_fmac_f32_e32 v124, v103, v30
	v_mul_f32_e32 v103, v106, v35
	v_mul_f32_e32 v20, v105, v35
	v_fma_f32 v100, v104, v30, -v23
	v_fmac_f32_e32 v24, v101, v32
	v_fma_f32 v25, v102, v32, -v25
	v_fmac_f32_e32 v103, v105, v34
	v_fma_f32 v101, v106, v34, -v20
	ds_read2_b64 v[30:33], v97 offset0:116 offset1:176
	s_waitcnt vmcnt(10) lgkmcnt(2)
	v_mul_f32_e32 v102, v61, v37
	v_mul_f32_e32 v20, v60, v37
	s_waitcnt vmcnt(9)
	v_mul_f32_e32 v104, v63, v41
	v_mul_f32_e32 v23, v62, v41
	s_waitcnt lgkmcnt(1)
	v_mul_f32_e32 v105, v67, v43
	v_mul_f32_e32 v34, v66, v43
	v_fmac_f32_e32 v102, v60, v36
	v_fma_f32 v60, v61, v36, -v20
	v_fmac_f32_e32 v104, v62, v40
	v_fma_f32 v61, v63, v40, -v23
	v_mul_f32_e32 v62, v65, v39
	v_mul_f32_e32 v20, v64, v39
	v_fmac_f32_e32 v105, v66, v42
	v_fma_f32 v63, v67, v42, -v34
	ds_read2_b64 v[40:43], v96 offset0:92 offset1:152
	v_mul_f32_e32 v66, v37, v3
	v_mul_f32_e32 v23, v37, v2
	;; [unrolled: 1-line block ×3, first 2 shown]
	s_waitcnt vmcnt(8)
	v_mul_f32_e32 v35, v68, v45
	v_fmac_f32_e32 v62, v64, v38
	v_fma_f32 v64, v65, v38, -v20
	v_mul_f32_e32 v20, v69, v45
	v_fmac_f32_e32 v66, v36, v2
	v_fma_f32 v45, v36, v3, -v23
	v_fma_f32 v67, v38, v71, -v34
	;; [unrolled: 1-line block ×3, first 2 shown]
	ds_read2_b64 v[34:37], v94 offset0:188 offset1:248
	ds_read2_b64 v[26:29], v12 offset0:76 offset1:136
	v_mul_f32_e32 v65, v39, v71
	v_mul_f32_e32 v3, v73, v47
	;; [unrolled: 1-line block ×3, first 2 shown]
	v_fmac_f32_e32 v20, v68, v44
	s_waitcnt vmcnt(6) lgkmcnt(3)
	v_mul_f32_e32 v68, v33, v53
	v_mul_f32_e32 v47, v32, v53
	v_fmac_f32_e32 v65, v38, v70
	v_mul_f32_e32 v44, v75, v49
	v_mul_f32_e32 v38, v74, v49
	v_fmac_f32_e32 v3, v72, v46
	v_fma_f32 v23, v73, v46, -v23
	v_mul_f32_e32 v46, v31, v49
	v_mul_f32_e32 v39, v30, v49
	s_waitcnt lgkmcnt(2)
	v_mul_f32_e32 v53, v43, v55
	v_fmac_f32_e32 v68, v32, v52
	v_fma_f32 v52, v33, v52, -v47
	v_mul_f32_e32 v47, v41, v51
	v_fmac_f32_e32 v44, v74, v48
	v_fma_f32 v49, v75, v48, -v38
	;; [unrolled: 3-line block ×3, first 2 shown]
	ds_read2_b64 v[30:33], v94 offset0:68 offset1:128
	v_mul_f32_e32 v55, v40, v51
	v_fmac_f32_e32 v53, v42, v54
	s_waitcnt vmcnt(5) lgkmcnt(2)
	v_mul_f32_e32 v69, v35, v108
	v_mul_f32_e32 v42, v34, v108
	v_fmac_f32_e32 v47, v40, v50
	s_waitcnt vmcnt(4)
	v_mul_f32_e32 v72, v37, v110
	v_mul_f32_e32 v40, v36, v110
	v_fma_f32 v54, v43, v54, -v38
	ds_read_b64 v[38:39], v9
	v_fma_f32 v43, v41, v50, -v55
	v_fmac_f32_e32 v69, v34, v107
	v_fma_f32 v70, v35, v107, -v42
	v_fmac_f32_e32 v72, v36, v109
	v_fma_f32 v73, v37, v109, -v40
	ds_read_b64 v[34:35], v10
	ds_read_b64 v[36:37], v11
	ds_read_b64 v[40:41], v91 offset:16800
	v_mul_f32_e32 v55, v79, v51
	s_waitcnt vmcnt(3) lgkmcnt(5)
	v_mul_f32_e32 v42, v29, v112
	v_mul_f32_e32 v74, v28, v112
	;; [unrolled: 1-line block ×3, first 2 shown]
	s_waitcnt vmcnt(2) lgkmcnt(4)
	v_mul_f32_e32 v71, v33, v114
	v_fmac_f32_e32 v55, v78, v50
	v_fmac_f32_e32 v42, v28, v111
	v_fma_f32 v28, v29, v111, -v74
	s_waitcnt vmcnt(1)
	v_mul_f32_e32 v29, v26, v59
	v_fma_f32 v50, v79, v50, -v51
	v_mul_f32_e32 v51, v32, v114
	v_mul_f32_e32 v78, v30, v112
	;; [unrolled: 1-line block ×3, first 2 shown]
	v_fma_f32 v110, v27, v58, -v29
	v_add_f32_e32 v27, v65, v55
	v_mul_f32_e32 v75, v31, v112
	v_fmac_f32_e32 v71, v32, v113
	v_fma_f32 v79, v33, v113, -v51
	v_mul_f32_e32 v32, v76, v57
	v_fma_f32 v51, v31, v111, -v78
	v_fmac_f32_e32 v107, v26, v58
	s_waitcnt vmcnt(0) lgkmcnt(0)
	v_mul_f32_e32 v26, v40, v116
	v_add_f32_e32 v29, v4, v65
	v_fma_f32 v31, -0.5, v27, v4
	v_sub_f32_e32 v4, v67, v50
	v_fmac_f32_e32 v75, v30, v111
	v_fma_f32 v108, v77, v56, -v32
	v_fma_f32 v111, v41, v115, -v26
	v_add_f32_e32 v26, v67, v50
	v_add_f32_e32 v27, v5, v67
	v_fmamk_f32 v32, v4, 0xbf5db3d7, v31
	v_fmac_f32_e32 v31, 0x3f5db3d7, v4
	v_add_f32_e32 v4, v49, v28
	v_mul_f32_e32 v109, v41, v116
	v_fma_f32 v41, -0.5, v26, v5
	v_sub_f32_e32 v5, v65, v55
	v_add_f32_e32 v33, v27, v50
	v_add_f32_e32 v26, v44, v42
	;; [unrolled: 1-line block ×3, first 2 shown]
	v_fmac_f32_e32 v45, -0.5, v4
	v_sub_f32_e32 v4, v44, v42
	v_add_f32_e32 v30, v29, v55
	v_fmamk_f32 v50, v5, 0x3f5db3d7, v41
	v_add_f32_e32 v29, v66, v44
	v_fmac_f32_e32 v66, -0.5, v26
	v_sub_f32_e32 v26, v49, v28
	v_fmac_f32_e32 v41, 0xbf5db3d7, v5
	v_fmamk_f32 v5, v4, 0x3f5db3d7, v45
	v_fmac_f32_e32 v109, v40, v115
	v_fmac_f32_e32 v45, 0xbf5db3d7, v4
	v_add_f32_e32 v40, v29, v42
	v_fmamk_f32 v29, v26, 0xbf5db3d7, v66
	v_mul_f32_e32 v42, 0xbf5db3d7, v5
	v_fmac_f32_e32 v66, 0x3f5db3d7, v26
	v_mul_f32_e32 v44, 0xbf5db3d7, v45
	v_mul_f32_e32 v55, 0.5, v5
	v_mul_f32_e32 v45, -0.5, v45
	v_fmac_f32_e32 v42, 0.5, v29
	v_add_f32_e32 v49, v27, v28
	v_fmac_f32_e32 v44, -0.5, v66
	v_add_f32_e32 v4, v30, v40
	v_fmac_f32_e32 v55, 0x3f5db3d7, v29
	v_add_f32_e32 v26, v32, v42
	v_sub_f32_e32 v32, v32, v42
	v_add_f32_e32 v42, v62, v47
	v_fmac_f32_e32 v45, 0x3f5db3d7, v66
	v_add_f32_e32 v28, v31, v44
	v_sub_f32_e32 v30, v30, v40
	v_sub_f32_e32 v40, v31, v44
	v_add_f32_e32 v44, v36, v62
	v_fma_f32 v36, -0.5, v42, v36
	v_sub_f32_e32 v42, v64, v43
	v_add_f32_e32 v5, v33, v49
	v_add_f32_e32 v27, v50, v55
	;; [unrolled: 1-line block ×3, first 2 shown]
	v_sub_f32_e32 v31, v33, v49
	v_sub_f32_e32 v33, v50, v55
	;; [unrolled: 1-line block ×3, first 2 shown]
	v_add_f32_e32 v45, v64, v43
	v_add_f32_e32 v49, v44, v47
	;; [unrolled: 1-line block ×3, first 2 shown]
	v_fmamk_f32 v50, v42, 0xbf5db3d7, v36
	v_fmac_f32_e32 v36, 0x3f5db3d7, v42
	v_add_f32_e32 v42, v48, v51
	v_mul_f32_e32 v106, v77, v57
	v_fmac_f32_e32 v37, -0.5, v45
	v_sub_f32_e32 v45, v62, v47
	v_add_f32_e32 v55, v44, v43
	v_add_f32_e32 v43, v46, v75
	v_add_f32_e32 v44, v60, v48
	v_fmac_f32_e32 v60, -0.5, v42
	v_sub_f32_e32 v42, v46, v75
	v_fmac_f32_e32 v106, v76, v56
	v_fmamk_f32 v56, v45, 0x3f5db3d7, v37
	v_add_f32_e32 v46, v102, v46
	v_fmac_f32_e32 v102, -0.5, v43
	v_sub_f32_e32 v43, v48, v51
	v_fmac_f32_e32 v37, 0xbf5db3d7, v45
	v_fmamk_f32 v45, v42, 0x3f5db3d7, v60
	v_fmac_f32_e32 v60, 0xbf5db3d7, v42
	v_add_f32_e32 v48, v46, v75
	v_fmamk_f32 v46, v43, 0xbf5db3d7, v102
	v_add_f32_e32 v51, v44, v51
	v_mul_f32_e32 v59, 0.5, v45
	v_fmac_f32_e32 v102, 0x3f5db3d7, v43
	v_mul_f32_e32 v57, 0xbf5db3d7, v45
	v_mul_f32_e32 v58, 0xbf5db3d7, v60
	v_add_f32_e32 v42, v49, v48
	v_fmac_f32_e32 v59, 0x3f5db3d7, v46
	v_add_f32_e32 v43, v55, v51
	v_sub_f32_e32 v48, v49, v48
	v_sub_f32_e32 v49, v55, v51
	v_add_f32_e32 v55, v105, v53
	v_fmac_f32_e32 v57, 0.5, v46
	v_fmac_f32_e32 v58, -0.5, v102
	v_add_f32_e32 v45, v56, v59
	v_sub_f32_e32 v51, v56, v59
	v_add_f32_e32 v56, v34, v105
	v_fma_f32 v34, -0.5, v55, v34
	v_sub_f32_e32 v55, v63, v54
	v_add_f32_e32 v44, v50, v57
	v_add_f32_e32 v46, v36, v58
	v_sub_f32_e32 v50, v50, v57
	v_sub_f32_e32 v36, v36, v58
	v_add_f32_e32 v57, v63, v54
	v_add_f32_e32 v58, v56, v53
	v_add_f32_e32 v56, v35, v63
	v_fmamk_f32 v59, v55, 0xbf5db3d7, v34
	v_fmac_f32_e32 v34, 0x3f5db3d7, v55
	v_add_f32_e32 v55, v52, v79
	v_fmac_f32_e32 v35, -0.5, v57
	v_sub_f32_e32 v53, v105, v53
	v_add_f32_e32 v62, v56, v54
	v_add_f32_e32 v54, v68, v71
	;; [unrolled: 1-line block ×3, first 2 shown]
	v_fmac_f32_e32 v61, -0.5, v55
	v_sub_f32_e32 v55, v68, v71
	v_mul_f32_e32 v60, -0.5, v60
	v_fmamk_f32 v63, v53, 0x3f5db3d7, v35
	v_add_f32_e32 v57, v104, v68
	v_fmac_f32_e32 v104, -0.5, v54
	v_sub_f32_e32 v52, v52, v79
	v_fmac_f32_e32 v35, 0xbf5db3d7, v53
	v_fmamk_f32 v53, v55, 0x3f5db3d7, v61
	v_fmac_f32_e32 v60, 0x3f5db3d7, v102
	v_fmac_f32_e32 v61, 0xbf5db3d7, v55
	v_fmamk_f32 v54, v52, 0xbf5db3d7, v104
	v_add_f32_e32 v66, v56, v79
	v_mul_f32_e32 v64, 0xbf5db3d7, v53
	v_add_f32_e32 v47, v37, v60
	v_sub_f32_e32 v37, v37, v60
	v_add_f32_e32 v60, v57, v71
	v_mul_f32_e32 v67, 0.5, v53
	v_fmac_f32_e32 v64, 0.5, v54
	v_fmac_f32_e32 v104, 0x3f5db3d7, v52
	v_mul_f32_e32 v68, -0.5, v61
	v_add_f32_e32 v52, v58, v60
	v_fmac_f32_e32 v67, 0x3f5db3d7, v54
	v_add_f32_e32 v54, v59, v64
	v_add_f32_e32 v53, v62, v66
	v_sub_f32_e32 v58, v58, v60
	v_sub_f32_e32 v60, v59, v64
	;; [unrolled: 1-line block ×3, first 2 shown]
	v_add_f32_e32 v62, v119, v124
	v_mul_f32_e32 v65, 0xbf5db3d7, v61
	v_fmac_f32_e32 v68, 0x3f5db3d7, v104
	v_add_f32_e32 v55, v63, v67
	v_sub_f32_e32 v61, v63, v67
	v_add_f32_e32 v63, v38, v119
	v_fma_f32 v38, -0.5, v62, v38
	v_sub_f32_e32 v62, v120, v100
	v_fmac_f32_e32 v65, -0.5, v104
	v_add_f32_e32 v57, v35, v68
	v_sub_f32_e32 v35, v35, v68
	v_add_f32_e32 v64, v120, v100
	v_add_f32_e32 v68, v63, v124
	;; [unrolled: 1-line block ×3, first 2 shown]
	v_fmamk_f32 v71, v62, 0xbf5db3d7, v38
	v_fmac_f32_e32 v38, 0x3f5db3d7, v62
	v_add_f32_e32 v62, v99, v70
	v_add_f32_e32 v56, v34, v65
	v_sub_f32_e32 v34, v34, v65
	v_fmac_f32_e32 v39, -0.5, v64
	v_sub_f32_e32 v64, v119, v124
	v_add_f32_e32 v74, v63, v100
	v_add_f32_e32 v63, v123, v69
	;; [unrolled: 1-line block ×3, first 2 shown]
	v_fmac_f32_e32 v118, -0.5, v62
	v_sub_f32_e32 v62, v123, v69
	v_fmamk_f32 v75, v64, 0x3f5db3d7, v39
	v_add_f32_e32 v66, v117, v123
	v_fmac_f32_e32 v117, -0.5, v63
	v_sub_f32_e32 v63, v99, v70
	v_fmac_f32_e32 v39, 0xbf5db3d7, v64
	v_fmamk_f32 v64, v62, 0x3f5db3d7, v118
	v_add_f32_e32 v69, v66, v69
	v_add_f32_e32 v78, v65, v70
	v_fmamk_f32 v66, v63, 0xbf5db3d7, v117
	v_fmac_f32_e32 v118, 0xbf5db3d7, v62
	v_mul_f32_e32 v76, 0xbf5db3d7, v64
	v_mul_f32_e32 v79, 0.5, v64
	v_fmac_f32_e32 v117, 0x3f5db3d7, v63
	v_add_f32_e32 v62, v68, v69
	v_add_f32_e32 v63, v74, v78
	v_fmac_f32_e32 v76, 0.5, v66
	v_fmac_f32_e32 v79, 0x3f5db3d7, v66
	v_sub_f32_e32 v68, v68, v69
	v_sub_f32_e32 v69, v74, v78
	v_add_f32_e32 v74, v121, v103
	v_mul_f32_e32 v77, 0xbf5db3d7, v118
	v_mul_f32_e32 v99, -0.5, v118
	v_add_f32_e32 v64, v71, v76
	v_add_f32_e32 v65, v75, v79
	v_sub_f32_e32 v70, v71, v76
	v_sub_f32_e32 v71, v75, v79
	v_add_f32_e32 v75, v6, v121
	v_fma_f32 v6, -0.5, v74, v6
	v_sub_f32_e32 v74, v122, v101
	v_fmac_f32_e32 v77, -0.5, v117
	v_fmac_f32_e32 v99, 0x3f5db3d7, v117
	v_add_f32_e32 v76, v122, v101
	v_add_f32_e32 v100, v22, v25
	v_fmamk_f32 v78, v74, 0xbf5db3d7, v6
	v_fmac_f32_e32 v6, 0x3f5db3d7, v74
	v_add_f32_e32 v74, v25, v73
	v_add_f32_e32 v66, v38, v77
	;; [unrolled: 1-line block ×3, first 2 shown]
	v_sub_f32_e32 v38, v38, v77
	v_sub_f32_e32 v39, v39, v99
	v_add_f32_e32 v77, v7, v122
	v_fmac_f32_e32 v7, -0.5, v76
	v_sub_f32_e32 v76, v121, v103
	v_add_f32_e32 v99, v24, v72
	v_fmac_f32_e32 v22, -0.5, v74
	v_sub_f32_e32 v74, v24, v72
	v_add_f32_e32 v24, v21, v24
	v_fmamk_f32 v79, v76, 0x3f5db3d7, v7
	v_fmac_f32_e32 v21, -0.5, v99
	v_sub_f32_e32 v25, v25, v73
	v_fmac_f32_e32 v7, 0xbf5db3d7, v76
	v_fmamk_f32 v76, v74, 0x3f5db3d7, v22
	v_fmac_f32_e32 v22, 0xbf5db3d7, v74
	v_add_f32_e32 v77, v77, v101
	v_add_f32_e32 v74, v24, v72
	v_fmamk_f32 v72, v25, 0xbf5db3d7, v21
	v_fmac_f32_e32 v21, 0x3f5db3d7, v25
	v_mul_f32_e32 v99, 0xbf5db3d7, v76
	v_mul_f32_e32 v101, 0xbf5db3d7, v22
	v_add_f32_e32 v75, v75, v103
	v_mul_f32_e32 v102, 0.5, v76
	v_mul_f32_e32 v103, -0.5, v22
	v_fmac_f32_e32 v99, 0.5, v72
	v_fmac_f32_e32 v101, -0.5, v21
	v_add_f32_e32 v100, v100, v73
	v_fmac_f32_e32 v102, 0x3f5db3d7, v72
	v_fmac_f32_e32 v103, 0x3f5db3d7, v21
	v_add_f32_e32 v21, v78, v99
	v_add_f32_e32 v72, v6, v101
	v_sub_f32_e32 v76, v78, v99
	v_sub_f32_e32 v78, v6, v101
	v_add_f32_e32 v6, v3, v107
	v_add_f32_e32 v24, v75, v74
	;; [unrolled: 1-line block ×5, first 2 shown]
	v_sub_f32_e32 v74, v75, v74
	v_sub_f32_e32 v75, v77, v100
	;; [unrolled: 1-line block ×3, first 2 shown]
	v_add_f32_e32 v99, v0, v3
	v_sub_f32_e32 v79, v7, v103
	v_add_f32_e32 v7, v23, v110
	v_fma_f32 v0, -0.5, v6, v0
	v_sub_f32_e32 v6, v23, v110
	v_add_f32_e32 v23, v1, v23
	v_add_f32_e32 v103, v99, v107
	v_fmac_f32_e32 v1, -0.5, v7
	v_sub_f32_e32 v3, v3, v107
	v_fmamk_f32 v7, v6, 0xbf5db3d7, v0
	v_fmac_f32_e32 v0, 0x3f5db3d7, v6
	v_add_f32_e32 v6, v108, v111
	v_add_f32_e32 v99, v106, v109
	;; [unrolled: 1-line block ×3, first 2 shown]
	v_fmamk_f32 v107, v3, 0x3f5db3d7, v1
	v_add_f32_e32 v101, v20, v106
	v_fmac_f32_e32 v2, -0.5, v6
	v_sub_f32_e32 v6, v106, v109
	v_fmac_f32_e32 v20, -0.5, v99
	v_sub_f32_e32 v99, v108, v111
	v_fmac_f32_e32 v1, 0xbf5db3d7, v3
	v_fmamk_f32 v3, v6, 0x3f5db3d7, v2
	v_fmac_f32_e32 v2, 0xbf5db3d7, v6
	v_add_f32_e32 v6, v101, v109
	v_fmamk_f32 v101, v99, 0xbf5db3d7, v20
	s_barrier
	v_mul_f32_e32 v104, 0xbf5db3d7, v3
	buffer_gl0_inv
	ds_write2_b64 v91, v[4:5], v[26:27] offset1:60
	ds_write2_b64 v91, v[28:29], v[30:31] offset0:120 offset1:180
	v_lshl_add_u32 v4, v19, 3, 0
	v_fmac_f32_e32 v20, 0x3f5db3d7, v99
	v_fmac_f32_e32 v104, 0.5, v101
	v_add_nc_u32_e32 v5, 0xc00, v91
	v_add_f32_e32 v23, v23, v110
	v_mul_f32_e32 v106, 0xbf5db3d7, v2
	v_mul_f32_e32 v110, -0.5, v2
	v_add_f32_e32 v99, v7, v104
	v_sub_f32_e32 v105, v7, v104
	v_add_nc_u32_e32 v7, 0x1400, v4
	v_add_f32_e32 v2, v103, v6
	v_sub_f32_e32 v103, v103, v6
	v_lshl_add_u32 v6, v17, 3, 0
	v_mul_f32_e32 v109, 0.5, v3
	v_add_nc_u32_e32 v4, 0x1800, v4
	ds_write2_b64 v93, v[32:33], v[40:41] offset0:112 offset1:172
	ds_write2_b64 v95, v[42:43], v[44:45] offset0:104 offset1:164
	;; [unrolled: 1-line block ×5, first 2 shown]
	v_lshl_add_u32 v7, v16, 3, 0
	v_add_nc_u32_e32 v5, 0x2000, v6
	v_add_f32_e32 v108, v100, v111
	v_fmac_f32_e32 v109, 0x3f5db3d7, v101
	v_lshl_add_u32 v16, v18, 3, 0
	v_fmac_f32_e32 v106, -0.5, v20
	v_fmac_f32_e32 v110, 0x3f5db3d7, v20
	ds_write2_b64 v4, v[56:57], v[58:59] offset0:72 offset1:132
	ds_write2_b64 v4, v[60:61], v[34:35] offset0:192 offset1:252
	;; [unrolled: 1-line block ×3, first 2 shown]
	v_add_nc_u32_e32 v4, 0x2800, v6
	v_add_nc_u32_e32 v6, 0x2800, v7
	;; [unrolled: 1-line block ×3, first 2 shown]
	v_mul_i32_i24_e32 v7, 5, v84
	v_add_f32_e32 v3, v23, v108
	v_add_f32_e32 v100, v107, v109
	ds_write2_b64 v5, v[66:67], v[68:69] offset0:176 offset1:236
	ds_write2_b64 v4, v[70:71], v[38:39] offset0:40 offset1:100
	;; [unrolled: 1-line block ×3, first 2 shown]
	v_add_nc_u32_e32 v4, 0x3800, v16
	v_add_f32_e32 v101, v0, v106
	v_add_f32_e32 v102, v1, v110
	v_sub_f32_e32 v104, v23, v108
	v_sub_f32_e32 v0, v0, v106
	;; [unrolled: 1-line block ×4, first 2 shown]
	v_add_nc_u32_e32 v5, 0x3c00, v16
	ds_write2_b64 v17, v[72:73], v[74:75] offset0:24 offset1:84
	ds_write2_b64 v17, v[76:77], v[78:79] offset0:144 offset1:204
	;; [unrolled: 1-line block ×5, first 2 shown]
	v_lshlrev_b64 v[0:1], 3, v[7:8]
	v_mul_i32_i24_e32 v7, 5, v89
	s_waitcnt lgkmcnt(0)
	s_barrier
	buffer_gl0_inv
	v_add_co_u32 v4, s0, s12, v0
	v_add_co_ci_u32_e64 v5, s0, s13, v1, s0
	v_lshlrev_b64 v[0:1], 3, v[7:8]
	v_add_co_u32 v2, s0, 0x800, v4
	v_add_co_ci_u32_e64 v3, s0, 0, v5, s0
	v_mul_i32_i24_e32 v7, 5, v88
	v_add_co_u32 v6, s0, s12, v0
	v_add_co_ci_u32_e64 v24, s0, s13, v1, s0
	global_load_dwordx4 v[16:19], v[2:3], off offset:752
	v_add_co_u32 v0, s0, 0x800, v6
	v_add_co_ci_u32_e64 v1, s0, 0, v24, s0
	global_load_dwordx4 v[20:23], v[0:1], off offset:752
	v_add_co_u32 v0, s0, 0xaf0, v4
	v_add_co_ci_u32_e64 v1, s0, 0, v5, s0
	v_lshlrev_b64 v[4:5], 3, v[7:8]
	v_add_co_u32 v2, s0, 0xaf0, v6
	v_mul_u32_u24_e32 v6, 5, v13
	v_add_co_ci_u32_e64 v3, s0, 0, v24, s0
	v_add_co_u32 v7, s0, s12, v4
	v_add_co_ci_u32_e64 v13, s0, s13, v5, s0
	v_lshlrev_b32_e32 v6, 3, v6
	v_add_co_u32 v4, s0, 0x800, v7
	s_clause 0x1
	global_load_dwordx4 v[24:27], v[0:1], off offset:16
	global_load_dwordx4 v[28:31], v[2:3], off offset:16
	v_add_co_ci_u32_e64 v5, s0, 0, v13, s0
	v_add_co_u32 v60, s0, s12, v6
	v_add_co_ci_u32_e64 v61, null, s13, 0, s0
	global_load_dwordx4 v[32:35], v[4:5], off offset:752
	v_add_co_u32 v4, s0, 0x800, v60
	v_add_co_ci_u32_e64 v5, s0, 0, v61, s0
	v_add_co_u32 v6, s0, s12, v15
	v_add_co_ci_u32_e64 v15, null, s13, 0, s0
	global_load_dwordx4 v[36:39], v[4:5], off offset:752
	v_add_co_u32 v4, s0, 0x800, v6
	v_add_co_ci_u32_e64 v5, s0, 0, v15, s0
	global_load_dwordx4 v[40:43], v[4:5], off offset:752
	v_add_co_u32 v4, s0, 0xaf0, v6
	v_add_co_ci_u32_e64 v5, s0, 0, v15, s0
	v_add_co_u32 v6, s0, 0xaf0, v7
	v_add_co_ci_u32_e64 v7, s0, 0, v13, s0
	global_load_dwordx4 v[44:47], v[4:5], off offset:16
	v_add_co_u32 v56, s0, 0xaf0, v60
	global_load_dwordx4 v[48:51], v[6:7], off offset:16
	v_add_co_ci_u32_e64 v57, s0, 0, v61, s0
	s_clause 0x4
	global_load_dwordx4 v[52:55], v[56:57], off offset:16
	global_load_dwordx2 v[109:110], v[4:5], off offset:32
	global_load_dwordx2 v[111:112], v[0:1], off offset:32
	;; [unrolled: 1-line block ×4, first 2 shown]
	v_add_co_u32 v0, s0, 0x1000, v60
	v_add_co_ci_u32_e64 v1, s0, 0, v61, s0
	s_clause 0x1
	global_load_dwordx2 v[117:118], v[56:57], off offset:32
	global_load_dwordx4 v[56:59], v[0:1], off offset:1104
	v_add_co_u32 v0, s0, 0x1450, v60
	v_add_co_ci_u32_e64 v1, s0, 0, v61, s0
	s_clause 0x1
	global_load_dwordx4 v[60:63], v[0:1], off offset:16
	global_load_dwordx2 v[119:120], v[0:1], off offset:32
	ds_read2_b64 v[64:67], v95 offset0:164 offset1:224
	ds_read2_b64 v[68:71], v81 offset0:12 offset1:72
	ds_read2_b64 v[4:7], v91 offset1:240
	ds_read2_b64 v[0:3], v95 offset0:44 offset1:104
	ds_read2_b64 v[72:75], v97 offset0:116 offset1:176
	ds_read2_b64 v[76:79], v85 offset0:148 offset1:208
	ds_read2_b64 v[97:100], v98 offset0:124 offset1:184
	ds_read2_b64 v[101:104], v96 offset0:92 offset1:152
	ds_read2_b64 v[105:108], v85 offset0:28 offset1:88
	s_waitcnt vmcnt(17) lgkmcnt(8)
	v_mul_f32_e32 v95, v65, v17
	v_mul_f32_e32 v13, v64, v17
	s_waitcnt lgkmcnt(7)
	v_mul_f32_e32 v15, v68, v19
	v_fmac_f32_e32 v95, v64, v16
	v_mul_f32_e32 v64, v69, v19
	v_fma_f32 v65, v65, v16, -v13
	s_waitcnt vmcnt(16)
	v_mul_f32_e32 v96, v67, v21
	v_mul_f32_e32 v17, v66, v21
	v_mul_f32_e32 v13, v70, v23
	v_fmac_f32_e32 v64, v68, v18
	v_fma_f32 v68, v69, v18, -v15
	v_fmac_f32_e32 v96, v66, v20
	v_fma_f32 v66, v67, v20, -v17
	ds_read2_b64 v[15:18], v81 offset0:132 offset1:192
	v_mul_f32_e32 v67, v71, v23
	v_fmac_f32_e32 v67, v70, v22
	v_fma_f32 v70, v71, v22, -v13
	ds_read2_b64 v[19:22], v90 offset0:100 offset1:160
	s_waitcnt vmcnt(15) lgkmcnt(6)
	v_mul_f32_e32 v69, v73, v25
	v_mul_f32_e32 v23, v72, v25
	s_waitcnt lgkmcnt(3)
	v_mul_f32_e32 v71, v102, v27
	v_mul_f32_e32 v13, v101, v27
	v_fmac_f32_e32 v69, v72, v24
	v_fma_f32 v72, v73, v24, -v23
	v_fmac_f32_e32 v71, v101, v26
	s_waitcnt vmcnt(14)
	v_mul_f32_e32 v73, v75, v29
	v_mul_f32_e32 v23, v74, v29
	v_fma_f32 v101, v102, v26, -v13
	v_mul_f32_e32 v102, v104, v31
	v_mul_f32_e32 v13, v103, v31
	v_fmac_f32_e32 v73, v74, v28
	v_fma_f32 v74, v75, v28, -v23
	ds_read2_b64 v[23:26], v12 offset0:76 offset1:136
	v_fmac_f32_e32 v102, v103, v30
	v_fma_f32 v75, v104, v30, -v13
	s_waitcnt vmcnt(13) lgkmcnt(3)
	v_mul_f32_e32 v103, v106, v33
	v_mul_f32_e32 v12, v105, v33
	s_waitcnt lgkmcnt(2)
	v_mul_f32_e32 v104, v16, v35
	v_mul_f32_e32 v13, v15, v35
	ds_read2_b64 v[27:30], v14 offset0:108 offset1:168
	v_fmac_f32_e32 v103, v105, v32
	v_fma_f32 v105, v106, v32, -v12
	s_waitcnt vmcnt(12)
	v_mul_f32_e32 v12, v108, v37
	v_fmac_f32_e32 v104, v15, v34
	v_fma_f32 v106, v16, v34, -v13
	ds_read2_b64 v[31:34], v92 offset0:84 offset1:144
	v_mul_f32_e32 v13, v107, v37
	v_fmac_f32_e32 v12, v107, v36
	v_mul_f32_e32 v107, v18, v39
	v_mul_f32_e32 v14, v17, v39
	s_waitcnt vmcnt(11)
	v_mul_f32_e32 v39, v41, v3
	v_fma_f32 v13, v108, v36, -v13
	v_mul_f32_e32 v35, v41, v2
	v_fmac_f32_e32 v107, v17, v38
	v_fma_f32 v108, v18, v38, -v14
	ds_read2_b64 v[14:17], v94 offset0:68 offset1:128
	v_mul_f32_e32 v18, v43, v79
	v_mul_f32_e32 v36, v43, v78
	v_fmac_f32_e32 v39, v40, v2
	v_fma_f32 v40, v40, v3, -v35
	s_waitcnt vmcnt(10)
	v_mul_f32_e32 v41, v100, v45
	v_fmac_f32_e32 v18, v42, v78
	v_fma_f32 v42, v42, v79, -v36
	v_mul_f32_e32 v2, v99, v45
	s_waitcnt lgkmcnt(4)
	v_mul_f32_e32 v3, v21, v47
	ds_read2_b64 v[35:38], v94 offset0:188 offset1:248
	v_fmac_f32_e32 v41, v99, v44
	s_waitcnt vmcnt(9) lgkmcnt(2)
	v_mul_f32_e32 v79, v32, v51
	v_fma_f32 v44, v100, v44, -v2
	v_mul_f32_e32 v2, v27, v49
	v_fma_f32 v45, v22, v46, -v3
	v_mul_f32_e32 v3, v31, v51
	s_waitcnt vmcnt(8)
	v_mul_f32_e32 v99, v30, v53
	v_mul_f32_e32 v94, v34, v55
	v_fma_f32 v51, v28, v48, -v2
	v_mul_f32_e32 v2, v29, v53
	v_fma_f32 v53, v32, v50, -v3
	v_mul_f32_e32 v3, v33, v55
	v_mul_f32_e32 v43, v22, v47
	;; [unrolled: 1-line block ×3, first 2 shown]
	v_fmac_f32_e32 v94, v33, v54
	s_waitcnt vmcnt(6) lgkmcnt(1)
	v_mul_f32_e32 v33, v15, v112
	v_fma_f32 v121, v34, v54, -v3
	v_mul_f32_e32 v3, v14, v112
	v_fmac_f32_e32 v43, v21, v46
	v_fmac_f32_e32 v78, v27, v48
	;; [unrolled: 1-line block ×4, first 2 shown]
	v_fma_f32 v100, v30, v52, -v2
	ds_read_b64 v[21:22], v9
	v_mul_f32_e32 v46, v26, v110
	v_mul_f32_e32 v2, v25, v110
	ds_read_b64 v[27:28], v10
	ds_read_b64 v[29:30], v11
	ds_read_b64 v[31:32], v91 offset:16800
	v_fmac_f32_e32 v33, v14, v111
	v_fma_f32 v34, v15, v111, -v3
	s_waitcnt vmcnt(4) lgkmcnt(4)
	v_mul_f32_e32 v3, v35, v116
	s_waitcnt vmcnt(3)
	v_mul_f32_e32 v14, v37, v118
	v_fmac_f32_e32 v46, v25, v109
	v_fma_f32 v25, v26, v109, -v2
	v_mul_f32_e32 v2, v16, v114
	v_fma_f32 v54, v36, v115, -v3
	s_waitcnt vmcnt(2)
	v_mul_f32_e32 v3, v76, v57
	v_fma_f32 v110, v38, v117, -v14
	v_mul_f32_e32 v14, v97, v59
	v_mul_f32_e32 v47, v17, v114
	v_fma_f32 v48, v17, v113, -v2
	v_mul_f32_e32 v2, v77, v57
	v_fma_f32 v3, v77, v56, -v3
	v_fma_f32 v77, v98, v58, -v14
	s_waitcnt vmcnt(1)
	v_mul_f32_e32 v14, v23, v63
	v_fmac_f32_e32 v47, v16, v113
	v_mul_f32_e32 v111, v98, v59
	v_fmac_f32_e32 v2, v76, v56
	v_mul_f32_e32 v76, v20, v61
	v_mul_f32_e32 v15, v19, v61
	v_fma_f32 v113, v24, v62, -v14
	v_add_f32_e32 v14, v18, v43
	v_fmac_f32_e32 v111, v97, v58
	v_mul_f32_e32 v97, v24, v63
	v_fmac_f32_e32 v76, v19, v60
	v_fma_f32 v98, v20, v60, -v15
	s_waitcnt vmcnt(0) lgkmcnt(0)
	v_mul_f32_e32 v15, v31, v120
	v_add_f32_e32 v16, v4, v18
	v_fma_f32 v19, -0.5, v14, v4
	v_sub_f32_e32 v4, v42, v45
	v_fmac_f32_e32 v97, v23, v62
	v_fma_f32 v114, v32, v119, -v15
	v_add_f32_e32 v15, v42, v45
	v_add_f32_e32 v14, v5, v42
	v_fmamk_f32 v23, v4, 0xbf5db3d7, v19
	v_fmac_f32_e32 v19, 0x3f5db3d7, v4
	v_add_f32_e32 v4, v44, v25
	v_mul_f32_e32 v112, v32, v120
	v_fma_f32 v26, -0.5, v15, v5
	v_sub_f32_e32 v5, v18, v43
	v_add_f32_e32 v24, v14, v45
	v_add_f32_e32 v14, v41, v46
	v_add_f32_e32 v15, v40, v44
	v_fmac_f32_e32 v40, -0.5, v4
	v_sub_f32_e32 v4, v41, v46
	v_mul_f32_e32 v52, v36, v116
	v_mul_f32_e32 v109, v38, v118
	v_fmac_f32_e32 v112, v31, v119
	v_add_f32_e32 v20, v16, v43
	v_fmamk_f32 v31, v5, 0x3f5db3d7, v26
	v_add_f32_e32 v16, v39, v41
	v_fmac_f32_e32 v39, -0.5, v14
	v_sub_f32_e32 v14, v44, v25
	v_fmac_f32_e32 v26, 0xbf5db3d7, v5
	v_fmamk_f32 v5, v4, 0x3f5db3d7, v40
	v_fmac_f32_e32 v40, 0xbf5db3d7, v4
	v_fmac_f32_e32 v52, v35, v115
	;; [unrolled: 1-line block ×3, first 2 shown]
	v_add_f32_e32 v18, v16, v46
	v_fmamk_f32 v16, v14, 0xbf5db3d7, v39
	v_fmac_f32_e32 v39, 0x3f5db3d7, v14
	v_mul_f32_e32 v35, 0xbf5db3d7, v40
	v_mul_f32_e32 v37, 0.5, v5
	v_mul_f32_e32 v32, 0xbf5db3d7, v5
	v_add_f32_e32 v36, v15, v25
	v_mul_f32_e32 v38, -0.5, v40
	v_fmac_f32_e32 v35, -0.5, v39
	v_add_f32_e32 v4, v20, v18
	v_fmac_f32_e32 v37, 0x3f5db3d7, v16
	v_sub_f32_e32 v18, v20, v18
	v_add_f32_e32 v20, v64, v71
	v_fmac_f32_e32 v32, 0.5, v16
	v_fmac_f32_e32 v38, 0x3f5db3d7, v39
	v_add_f32_e32 v16, v19, v35
	v_add_f32_e32 v5, v24, v36
	;; [unrolled: 1-line block ×3, first 2 shown]
	v_sub_f32_e32 v25, v19, v35
	v_sub_f32_e32 v19, v24, v36
	;; [unrolled: 1-line block ×3, first 2 shown]
	v_add_f32_e32 v31, v29, v64
	v_fma_f32 v20, -0.5, v20, v29
	v_sub_f32_e32 v29, v68, v101
	v_add_f32_e32 v14, v23, v32
	v_add_f32_e32 v17, v26, v38
	v_sub_f32_e32 v23, v23, v32
	v_sub_f32_e32 v26, v26, v38
	v_add_f32_e32 v32, v68, v101
	v_add_f32_e32 v37, v31, v71
	;; [unrolled: 1-line block ×3, first 2 shown]
	v_fmamk_f32 v38, v29, 0xbf5db3d7, v20
	v_fmac_f32_e32 v20, 0x3f5db3d7, v29
	v_add_f32_e32 v29, v72, v34
	v_fmac_f32_e32 v30, -0.5, v32
	v_sub_f32_e32 v32, v64, v71
	v_add_f32_e32 v40, v31, v101
	v_add_f32_e32 v31, v69, v33
	;; [unrolled: 1-line block ×3, first 2 shown]
	v_fmac_f32_e32 v65, -0.5, v29
	v_sub_f32_e32 v29, v69, v33
	v_fmamk_f32 v41, v32, 0x3f5db3d7, v30
	v_add_f32_e32 v36, v95, v69
	v_fmac_f32_e32 v95, -0.5, v31
	v_sub_f32_e32 v31, v72, v34
	v_fmac_f32_e32 v30, 0xbf5db3d7, v32
	v_fmamk_f32 v32, v29, 0x3f5db3d7, v65
	v_fmac_f32_e32 v65, 0xbf5db3d7, v29
	v_add_f32_e32 v29, v36, v33
	v_fmamk_f32 v33, v31, 0xbf5db3d7, v95
	v_fmac_f32_e32 v95, 0x3f5db3d7, v31
	v_mul_f32_e32 v39, 0xbf5db3d7, v32
	v_mul_f32_e32 v42, 0xbf5db3d7, v65
	v_mul_f32_e32 v44, 0.5, v32
	v_add_f32_e32 v43, v35, v34
	v_add_f32_e32 v31, v37, v29
	v_fmac_f32_e32 v39, 0.5, v33
	v_fmac_f32_e32 v42, -0.5, v95
	v_fmac_f32_e32 v44, 0x3f5db3d7, v33
	v_sub_f32_e32 v37, v37, v29
	v_add_f32_e32 v32, v40, v43
	v_add_f32_e32 v33, v38, v39
	;; [unrolled: 1-line block ×3, first 2 shown]
	v_sub_f32_e32 v29, v20, v42
	v_add_f32_e32 v20, v67, v102
	v_add_f32_e32 v34, v41, v44
	v_sub_f32_e32 v39, v38, v39
	v_sub_f32_e32 v38, v40, v43
	;; [unrolled: 1-line block ×3, first 2 shown]
	v_add_f32_e32 v41, v27, v67
	v_fma_f32 v20, -0.5, v20, v27
	v_sub_f32_e32 v27, v70, v75
	v_add_f32_e32 v42, v70, v75
	v_add_f32_e32 v43, v66, v74
	;; [unrolled: 1-line block ×4, first 2 shown]
	v_fmamk_f32 v50, v27, 0xbf5db3d7, v20
	v_fmac_f32_e32 v20, 0x3f5db3d7, v27
	v_add_f32_e32 v27, v74, v48
	v_fmac_f32_e32 v28, -0.5, v42
	v_sub_f32_e32 v42, v67, v102
	v_add_f32_e32 v55, v41, v75
	v_add_f32_e32 v41, v73, v47
	v_fmac_f32_e32 v66, -0.5, v27
	v_sub_f32_e32 v27, v73, v47
	v_fmamk_f32 v56, v42, 0x3f5db3d7, v28
	v_add_f32_e32 v44, v96, v73
	v_fmac_f32_e32 v96, -0.5, v41
	v_sub_f32_e32 v41, v74, v48
	v_fmac_f32_e32 v28, 0xbf5db3d7, v42
	v_fmamk_f32 v42, v27, 0x3f5db3d7, v66
	v_fmac_f32_e32 v66, 0xbf5db3d7, v27
	v_mul_f32_e32 v45, -0.5, v65
	v_add_f32_e32 v27, v44, v47
	v_fmamk_f32 v44, v41, 0xbf5db3d7, v96
	v_fmac_f32_e32 v96, 0x3f5db3d7, v41
	v_mul_f32_e32 v58, 0xbf5db3d7, v66
	v_fmac_f32_e32 v45, 0x3f5db3d7, v95
	v_mul_f32_e32 v57, 0xbf5db3d7, v42
	v_add_f32_e32 v41, v49, v27
	v_sub_f32_e32 v47, v49, v27
	v_fmac_f32_e32 v58, -0.5, v96
	v_add_f32_e32 v36, v30, v45
	v_sub_f32_e32 v30, v30, v45
	v_add_f32_e32 v48, v43, v48
	v_mul_f32_e32 v59, 0.5, v42
	v_add_f32_e32 v45, v20, v58
	v_sub_f32_e32 v27, v20, v58
	v_add_f32_e32 v20, v104, v79
	v_mul_f32_e32 v60, -0.5, v66
	v_fmac_f32_e32 v57, 0.5, v44
	v_fmac_f32_e32 v59, 0x3f5db3d7, v44
	v_add_f32_e32 v42, v55, v48
	v_fma_f32 v58, -0.5, v20, v21
	v_sub_f32_e32 v20, v106, v53
	v_fmac_f32_e32 v60, 0x3f5db3d7, v96
	v_add_f32_e32 v43, v50, v57
	v_sub_f32_e32 v49, v50, v57
	v_sub_f32_e32 v48, v55, v48
	v_add_f32_e32 v55, v21, v104
	v_add_f32_e32 v21, v22, v106
	v_fmamk_f32 v57, v20, 0xbf5db3d7, v58
	v_fmac_f32_e32 v58, 0x3f5db3d7, v20
	v_add_f32_e32 v20, v51, v54
	v_add_f32_e32 v44, v56, v59
	;; [unrolled: 1-line block ×3, first 2 shown]
	v_sub_f32_e32 v50, v56, v59
	v_sub_f32_e32 v28, v28, v60
	v_add_f32_e32 v56, v106, v53
	v_add_f32_e32 v60, v21, v53
	;; [unrolled: 1-line block ×4, first 2 shown]
	v_fmac_f32_e32 v105, -0.5, v20
	v_sub_f32_e32 v20, v78, v52
	v_fmac_f32_e32 v22, -0.5, v56
	v_sub_f32_e32 v56, v104, v79
	v_add_f32_e32 v59, v103, v78
	v_fmac_f32_e32 v103, -0.5, v21
	v_sub_f32_e32 v21, v51, v54
	v_fmamk_f32 v51, v20, 0x3f5db3d7, v105
	v_fmac_f32_e32 v105, 0xbf5db3d7, v20
	v_fmamk_f32 v61, v56, 0x3f5db3d7, v22
	v_fmac_f32_e32 v22, 0xbf5db3d7, v56
	v_add_f32_e32 v56, v59, v52
	v_fmamk_f32 v52, v21, 0xbf5db3d7, v103
	v_fmac_f32_e32 v103, 0x3f5db3d7, v21
	v_mul_f32_e32 v59, 0xbf5db3d7, v51
	v_mul_f32_e32 v62, 0xbf5db3d7, v105
	v_mul_f32_e32 v64, 0.5, v51
	v_add_f32_e32 v63, v53, v54
	v_mul_f32_e32 v65, -0.5, v105
	v_fmac_f32_e32 v59, 0.5, v52
	v_fmac_f32_e32 v62, -0.5, v103
	v_fmac_f32_e32 v64, 0x3f5db3d7, v52
	v_add_f32_e32 v55, v55, v79
	v_fmac_f32_e32 v65, 0x3f5db3d7, v103
	v_add_f32_e32 v51, v57, v59
	v_add_f32_e32 v53, v58, v62
	v_sub_f32_e32 v57, v57, v59
	v_sub_f32_e32 v59, v58, v62
	v_add_f32_e32 v62, v107, v94
	v_add_f32_e32 v52, v61, v64
	v_sub_f32_e32 v58, v61, v64
	v_add_f32_e32 v61, v6, v107
	v_add_f32_e32 v20, v55, v56
	v_fma_f32 v6, -0.5, v62, v6
	v_sub_f32_e32 v62, v108, v121
	v_add_f32_e32 v21, v60, v63
	v_add_f32_e32 v54, v22, v65
	v_sub_f32_e32 v55, v55, v56
	v_sub_f32_e32 v56, v60, v63
	v_sub_f32_e32 v60, v22, v65
	v_add_f32_e32 v22, v108, v121
	v_add_f32_e32 v65, v61, v94
	;; [unrolled: 1-line block ×3, first 2 shown]
	v_fmamk_f32 v66, v62, 0xbf5db3d7, v6
	v_fmac_f32_e32 v6, 0x3f5db3d7, v62
	v_add_f32_e32 v62, v100, v110
	v_fmac_f32_e32 v7, -0.5, v22
	v_sub_f32_e32 v22, v107, v94
	v_add_f32_e32 v68, v61, v121
	v_add_f32_e32 v61, v99, v109
	;; [unrolled: 1-line block ×3, first 2 shown]
	v_fmac_f32_e32 v13, -0.5, v62
	v_sub_f32_e32 v62, v99, v109
	v_fmamk_f32 v69, v22, 0x3f5db3d7, v7
	v_add_f32_e32 v64, v12, v99
	v_fmac_f32_e32 v12, -0.5, v61
	v_sub_f32_e32 v61, v100, v110
	v_fmac_f32_e32 v7, 0xbf5db3d7, v22
	v_fmamk_f32 v22, v62, 0x3f5db3d7, v13
	v_fmac_f32_e32 v13, 0xbf5db3d7, v62
	v_add_f32_e32 v67, v64, v109
	v_fmamk_f32 v62, v61, 0xbf5db3d7, v12
	v_fmac_f32_e32 v12, 0x3f5db3d7, v61
	v_mul_f32_e32 v70, 0xbf5db3d7, v22
	v_mul_f32_e32 v71, 0xbf5db3d7, v13
	v_mul_f32_e32 v22, 0.5, v22
	v_mul_f32_e32 v73, -0.5, v13
	v_add_f32_e32 v72, v63, v110
	v_fmac_f32_e32 v70, 0.5, v62
	v_fmac_f32_e32 v71, -0.5, v12
	v_add_f32_e32 v61, v65, v67
	v_fmac_f32_e32 v22, 0x3f5db3d7, v62
	v_fmac_f32_e32 v73, 0x3f5db3d7, v12
	v_add_f32_e32 v12, v66, v70
	v_sub_f32_e32 v65, v65, v67
	v_sub_f32_e32 v67, v66, v70
	v_add_f32_e32 v70, v111, v97
	v_add_f32_e32 v62, v68, v72
	v_add_f32_e32 v13, v69, v22
	v_sub_f32_e32 v66, v68, v72
	v_sub_f32_e32 v68, v69, v22
	v_add_f32_e32 v22, v0, v111
	v_fma_f32 v0, -0.5, v70, v0
	v_sub_f32_e32 v70, v77, v113
	v_add_f32_e32 v63, v6, v71
	v_sub_f32_e32 v6, v6, v71
	v_add_f32_e32 v69, v77, v113
	v_add_f32_e32 v71, v1, v77
	v_fmamk_f32 v74, v70, 0xbf5db3d7, v0
	v_fmac_f32_e32 v0, 0x3f5db3d7, v70
	v_add_f32_e32 v70, v98, v114
	v_fmac_f32_e32 v1, -0.5, v69
	v_sub_f32_e32 v69, v111, v97
	v_add_f32_e32 v77, v71, v113
	v_add_f32_e32 v71, v76, v112
	;; [unrolled: 1-line block ×3, first 2 shown]
	v_fmac_f32_e32 v3, -0.5, v70
	v_sub_f32_e32 v70, v76, v112
	v_add_f32_e32 v64, v7, v73
	v_sub_f32_e32 v7, v7, v73
	v_fmamk_f32 v78, v69, 0x3f5db3d7, v1
	v_add_f32_e32 v73, v2, v76
	v_fmac_f32_e32 v2, -0.5, v71
	v_sub_f32_e32 v71, v98, v114
	v_fmac_f32_e32 v1, 0xbf5db3d7, v69
	v_fmamk_f32 v69, v70, 0x3f5db3d7, v3
	v_fmac_f32_e32 v3, 0xbf5db3d7, v70
	v_add_f32_e32 v22, v22, v97
	v_fmamk_f32 v70, v71, 0xbf5db3d7, v2
	v_fmac_f32_e32 v2, 0x3f5db3d7, v71
	v_mul_f32_e32 v75, 0xbf5db3d7, v69
	v_mul_f32_e32 v94, 0.5, v69
	v_mul_f32_e32 v76, 0xbf5db3d7, v3
	v_mul_f32_e32 v95, -0.5, v3
	v_add_f32_e32 v73, v73, v112
	v_fmac_f32_e32 v75, 0.5, v70
	v_fmac_f32_e32 v94, 0x3f5db3d7, v70
	v_fmac_f32_e32 v76, -0.5, v2
	v_fmac_f32_e32 v95, 0x3f5db3d7, v2
	v_add_f32_e32 v79, v72, v114
	v_add_f32_e32 v2, v74, v75
	;; [unrolled: 1-line block ×6, first 2 shown]
	v_sub_f32_e32 v73, v22, v73
	v_sub_f32_e32 v75, v74, v75
	;; [unrolled: 1-line block ×5, first 2 shown]
	v_add_f32_e32 v70, v77, v79
	v_sub_f32_e32 v1, v1, v95
	s_barrier
	buffer_gl0_inv
	ds_write_b64 v91, v[4:5]
	ds_write_b64 v91, v[14:15] offset:2880
	ds_write_b64 v91, v[16:17] offset:5760
	ds_write_b64 v91, v[18:19] offset:8640
	ds_write_b64 v91, v[23:24] offset:11520
	ds_write_b64 v91, v[25:26] offset:14400
	ds_write_b64 v11, v[31:32]
	ds_write_b64 v11, v[33:34] offset:2880
	ds_write_b64 v11, v[35:36] offset:5760
	ds_write_b64 v11, v[37:38] offset:8640
	ds_write_b64 v11, v[39:40] offset:11520
	ds_write_b64 v11, v[29:30] offset:14400
	;; [unrolled: 6-line block ×4, first 2 shown]
	ds_write2_b64 v93, v[61:62], v[69:70] offset0:112 offset1:172
	v_add_nc_u32_e32 v4, 0x3c00, v91
	ds_write2_b64 v85, v[12:13], v[2:3] offset0:88 offset1:148
	ds_write2_b64 v81, v[63:64], v[71:72] offset0:192 offset1:252
	;; [unrolled: 1-line block ×5, first 2 shown]
	s_waitcnt lgkmcnt(0)
	s_barrier
	buffer_gl0_inv
	ds_read_b64 v[4:5], v91
	v_lshlrev_b32_e32 v0, 3, v80
                                        ; implicit-def: $vgpr1
                                        ; implicit-def: $vgpr7
                                        ; implicit-def: $vgpr2_vgpr3
	v_sub_nc_u32_e32 v6, 0, v0
	v_cmpx_ne_u32_e32 0, v80
	s_xor_b32 s5, exec_lo, s5
	s_cbranch_execz .LBB0_17
; %bb.16:
	v_mov_b32_e32 v81, v8
	ds_read_b64 v[7:8], v6 offset:17280
	v_lshlrev_b64 v[0:1], 3, v[80:81]
	v_add_co_u32 v0, s0, s1, v0
	v_add_co_ci_u32_e64 v1, s0, s4, v1, s0
	global_load_dwordx2 v[1:2], v[0:1], off
	s_waitcnt lgkmcnt(0)
	v_sub_f32_e32 v0, v4, v7
	v_add_f32_e32 v3, v8, v5
	v_sub_f32_e32 v5, v5, v8
	v_mul_f32_e32 v8, 0.5, v0
	v_add_f32_e32 v0, v7, v4
	v_mul_f32_e32 v4, 0.5, v5
	v_mul_f32_e32 v3, 0.5, v3
	s_waitcnt vmcnt(0)
	v_mul_f32_e32 v5, v2, v8
	v_fma_f32 v7, v3, v2, v4
	v_fma_f32 v2, v3, v2, -v4
	v_fma_f32 v12, 0.5, v0, v5
	v_fma_f32 v0, v0, 0.5, -v5
	v_fma_f32 v7, -v1, v8, v7
                                        ; implicit-def: $vgpr4_vgpr5
	v_fmac_f32_e32 v12, v1, v3
	v_fma_f32 v0, -v1, v3, v0
	v_fma_f32 v1, -v1, v8, v2
	v_mov_b32_e32 v2, v80
	v_mov_b32_e32 v3, v81
	ds_write_b32 v91, v12
.LBB0_17:
	s_andn2_saveexec_b32 s0, s5
	s_cbranch_execz .LBB0_19
; %bb.18:
	v_mov_b32_e32 v7, 0
	v_mov_b32_e32 v2, 0
	s_waitcnt lgkmcnt(0)
	v_add_f32_e32 v8, v4, v5
	v_sub_f32_e32 v0, v4, v5
	v_mov_b32_e32 v3, 0
	ds_read_b32 v1, v7 offset:8644
	s_waitcnt lgkmcnt(0)
	v_xor_b32_e32 v4, 0x80000000, v1
	v_mov_b32_e32 v1, v7
	ds_write_b32 v91, v8
	ds_write_b32 v7, v4 offset:8644
.LBB0_19:
	s_or_b32 exec_lo, exec_lo, s0
	v_mov_b32_e32 v85, 0
	v_lshlrev_b64 v[2:3], 3, v[2:3]
	s_waitcnt lgkmcnt(0)
	v_lshlrev_b64 v[4:5], 3, v[84:85]
	v_mov_b32_e32 v90, v85
	v_or_b32_e32 v84, 0x3c0, v80
	v_lshlrev_b64 v[12:13], 3, v[89:90]
	v_add_co_u32 v4, s0, s1, v4
	v_add_co_ci_u32_e64 v5, s0, s4, v5, s0
	v_mov_b32_e32 v89, v85
	v_add_co_u32 v12, s0, s1, v12
	global_load_dwordx2 v[4:5], v[4:5], off
	v_add_co_ci_u32_e64 v13, s0, s4, v13, s0
	v_lshlrev_b64 v[14:15], 3, v[88:89]
	global_load_dwordx2 v[12:13], v[12:13], off
	v_add_co_u32 v14, s0, s1, v14
	v_add_co_ci_u32_e64 v15, s0, s4, v15, s0
	v_add_co_u32 v2, s0, s1, v2
	v_add_co_ci_u32_e64 v3, s0, s4, v3, s0
	global_load_dwordx2 v[14:15], v[14:15], off
	v_add_co_u32 v18, s0, 0x800, v2
	global_load_dwordx2 v[16:17], v[2:3], off offset:1920
	v_add_co_ci_u32_e64 v19, s0, 0, v3, s0
	s_clause 0x1
	global_load_dwordx2 v[20:21], v[18:19], off offset:352
	global_load_dwordx2 v[22:23], v[18:19], off offset:832
	ds_write_b32 v91, v7 offset:4
	ds_write_b64 v6, v[0:1] offset:17280
	ds_read_b64 v[0:1], v11
	ds_read_b64 v[7:8], v6 offset:16800
	global_load_dwordx2 v[24:25], v[18:19], off offset:1312
	s_waitcnt lgkmcnt(0)
	v_sub_f32_e32 v26, v0, v7
	v_add_f32_e32 v27, v1, v8
	v_sub_f32_e32 v1, v1, v8
	v_add_f32_e32 v7, v0, v7
	v_mul_f32_e32 v8, 0.5, v26
	v_mul_f32_e32 v26, 0.5, v27
	;; [unrolled: 1-line block ×3, first 2 shown]
	s_waitcnt vmcnt(6)
	v_mul_f32_e32 v27, v5, v8
	v_fma_f32 v28, v26, v5, v1
	v_fma_f32 v5, v26, v5, -v1
	v_fma_f32 v0, 0.5, v7, v27
	v_fma_f32 v7, v7, 0.5, -v27
	v_fma_f32 v1, -v4, v8, v28
	v_fma_f32 v5, -v4, v8, v5
	v_fmac_f32_e32 v0, v4, v26
	v_fma_f32 v4, -v4, v26, v7
	ds_write_b64 v11, v[0:1]
	ds_write_b64 v6, v[4:5] offset:16800
	ds_read_b64 v[0:1], v10
	ds_read_b64 v[4:5], v6 offset:16320
	global_load_dwordx2 v[7:8], v[18:19], off offset:1792
	s_waitcnt lgkmcnt(0)
	v_sub_f32_e32 v11, v0, v4
	v_add_f32_e32 v18, v1, v5
	v_sub_f32_e32 v1, v1, v5
	v_add_f32_e32 v4, v0, v4
	v_mul_f32_e32 v11, 0.5, v11
	v_mul_f32_e32 v18, 0.5, v18
	;; [unrolled: 1-line block ×3, first 2 shown]
	s_waitcnt vmcnt(6)
	v_mul_f32_e32 v5, v13, v11
	v_fma_f32 v19, v18, v13, v1
	v_fma_f32 v13, v18, v13, -v1
	v_fma_f32 v0, 0.5, v4, v5
	v_fma_f32 v26, v4, 0.5, -v5
	v_add_co_u32 v4, s0, 0x1000, v2
	v_add_co_ci_u32_e64 v5, s0, 0, v3, s0
	v_fma_f32 v1, -v12, v11, v19
	v_fmac_f32_e32 v0, v12, v18
	v_fma_f32 v13, -v12, v11, v13
	v_fma_f32 v12, -v12, v18, v26
	global_load_dwordx2 v[18:19], v[4:5], off offset:224
	ds_write_b64 v10, v[0:1]
	ds_write_b64 v6, v[12:13] offset:16320
	ds_read_b64 v[0:1], v9
	ds_read_b64 v[10:11], v6 offset:15840
	v_add_co_u32 v2, s0, 0x1800, v2
	v_add_co_ci_u32_e64 v3, s0, 0, v3, s0
	s_waitcnt lgkmcnt(0)
	v_sub_f32_e32 v12, v0, v10
	v_add_f32_e32 v13, v1, v11
	v_sub_f32_e32 v1, v1, v11
	v_add_f32_e32 v10, v0, v10
	v_mul_f32_e32 v11, 0.5, v12
	v_mul_f32_e32 v12, 0.5, v13
	;; [unrolled: 1-line block ×3, first 2 shown]
	s_waitcnt vmcnt(6)
	v_mul_f32_e32 v13, v15, v11
	v_fma_f32 v26, v12, v15, v1
	v_fma_f32 v15, v12, v15, -v1
	v_fma_f32 v0, 0.5, v10, v13
	v_fma_f32 v10, v10, 0.5, -v13
	v_fma_f32 v1, -v14, v11, v26
	v_fma_f32 v11, -v14, v11, v15
	v_fmac_f32_e32 v0, v14, v12
	v_fma_f32 v10, -v14, v12, v10
	ds_write_b64 v9, v[0:1]
	ds_write_b64 v6, v[10:11] offset:15840
	ds_read_b64 v[0:1], v91 offset:1920
	ds_read_b64 v[9:10], v6 offset:15360
	global_load_dwordx2 v[11:12], v[4:5], off offset:704
	s_waitcnt lgkmcnt(0)
	v_sub_f32_e32 v13, v0, v9
	v_add_f32_e32 v14, v1, v10
	v_sub_f32_e32 v1, v1, v10
	v_add_f32_e32 v9, v0, v9
	v_mul_f32_e32 v10, 0.5, v13
	v_mul_f32_e32 v13, 0.5, v14
	v_mul_f32_e32 v1, 0.5, v1
	s_waitcnt vmcnt(6)
	v_mul_f32_e32 v14, v17, v10
	v_fma_f32 v15, v13, v17, v1
	v_fma_f32 v17, v13, v17, -v1
	v_fma_f32 v0, 0.5, v9, v14
	v_fma_f32 v9, v9, 0.5, -v14
	v_fma_f32 v1, -v16, v10, v15
	v_fma_f32 v10, -v16, v10, v17
	v_fmac_f32_e32 v0, v16, v13
	v_fma_f32 v9, -v16, v13, v9
	ds_write_b64 v91, v[0:1] offset:1920
	ds_write_b64 v6, v[9:10] offset:15360
	ds_read_b64 v[0:1], v91 offset:2400
	ds_read_b64 v[9:10], v6 offset:14880
	global_load_dwordx2 v[13:14], v[4:5], off offset:1184
	s_waitcnt lgkmcnt(0)
	v_sub_f32_e32 v15, v0, v9
	v_add_f32_e32 v16, v1, v10
	v_sub_f32_e32 v1, v1, v10
	v_add_f32_e32 v9, v0, v9
	v_mul_f32_e32 v10, 0.5, v15
	v_mul_f32_e32 v15, 0.5, v16
	v_mul_f32_e32 v1, 0.5, v1
	s_waitcnt vmcnt(6)
	v_mul_f32_e32 v16, v21, v10
	v_fma_f32 v17, v15, v21, v1
	v_fma_f32 v21, v15, v21, -v1
	v_fma_f32 v0, 0.5, v9, v16
	v_fma_f32 v9, v9, 0.5, -v16
	v_fma_f32 v1, -v20, v10, v17
	v_fma_f32 v10, -v20, v10, v21
	v_fmac_f32_e32 v0, v20, v15
	v_fma_f32 v9, -v20, v15, v9
	ds_write_b64 v91, v[0:1] offset:2400
	;; [unrolled: 23-line block ×5, first 2 shown]
	ds_write_b64 v6, v[7:8] offset:13440
	ds_read_b64 v[0:1], v91 offset:4320
	ds_read_b64 v[7:8], v6 offset:12960
	global_load_dwordx2 v[9:10], v[2:3], off offset:1056
	s_waitcnt lgkmcnt(0)
	v_add_f32_e32 v22, v1, v8
	v_sub_f32_e32 v1, v1, v8
	v_sub_f32_e32 v17, v0, v7
	v_add_f32_e32 v23, v0, v7
	v_mul_f32_e32 v22, 0.5, v22
	v_mul_f32_e32 v8, 0.5, v1
	v_lshlrev_b64 v[0:1], 3, v[84:85]
	v_mul_f32_e32 v17, 0.5, v17
	s_waitcnt vmcnt(6)
	v_fma_f32 v25, v22, v19, v8
	v_add_co_u32 v0, s0, s1, v0
	v_add_co_ci_u32_e64 v1, s0, s4, v1, s0
	v_mul_f32_e32 v24, v19, v17
	v_fma_f32 v19, v22, v19, -v8
	v_fma_f32 v8, -v18, v17, v25
	global_load_dwordx2 v[0:1], v[0:1], off
	v_fma_f32 v7, 0.5, v23, v24
	v_fma_f32 v23, v23, 0.5, -v24
	v_fma_f32 v19, -v18, v17, v19
	v_fmac_f32_e32 v7, v18, v22
	v_fma_f32 v18, -v18, v22, v23
	ds_write_b64 v91, v[7:8] offset:4320
	ds_write_b64 v6, v[18:19] offset:12960
	ds_read_b64 v[7:8], v91 offset:4800
	ds_read_b64 v[17:18], v6 offset:12480
	global_load_dwordx2 v[2:3], v[2:3], off offset:2016
	s_waitcnt lgkmcnt(0)
	v_sub_f32_e32 v19, v7, v17
	v_add_f32_e32 v22, v8, v18
	v_sub_f32_e32 v8, v8, v18
	v_add_f32_e32 v17, v7, v17
	v_mul_f32_e32 v18, 0.5, v19
	v_mul_f32_e32 v19, 0.5, v22
	v_mul_f32_e32 v8, 0.5, v8
	s_waitcnt vmcnt(7)
	v_mul_f32_e32 v22, v12, v18
	v_fma_f32 v23, v19, v12, v8
	v_fma_f32 v12, v19, v12, -v8
	v_fma_f32 v7, 0.5, v17, v22
	v_fma_f32 v17, v17, 0.5, -v22
	v_fma_f32 v8, -v11, v18, v23
	v_fma_f32 v12, -v11, v18, v12
	v_fmac_f32_e32 v7, v11, v19
	v_fma_f32 v11, -v11, v19, v17
	ds_write_b64 v91, v[7:8] offset:4800
	ds_write_b64 v6, v[11:12] offset:12480
	ds_read_b64 v[7:8], v91 offset:5280
	ds_read_b64 v[11:12], v6 offset:12000
	s_waitcnt lgkmcnt(0)
	v_sub_f32_e32 v17, v7, v11
	v_add_f32_e32 v18, v8, v12
	v_sub_f32_e32 v8, v8, v12
	v_add_f32_e32 v11, v7, v11
	v_mul_f32_e32 v12, 0.5, v17
	v_mul_f32_e32 v17, 0.5, v18
	v_mul_f32_e32 v8, 0.5, v8
	s_waitcnt vmcnt(6)
	v_mul_f32_e32 v18, v14, v12
	v_fma_f32 v19, v17, v14, v8
	v_fma_f32 v14, v17, v14, -v8
	v_fma_f32 v7, 0.5, v11, v18
	v_fma_f32 v11, v11, 0.5, -v18
	v_fma_f32 v8, -v13, v12, v19
	v_fma_f32 v12, -v13, v12, v14
	v_fmac_f32_e32 v7, v13, v17
	v_fma_f32 v11, -v13, v17, v11
	ds_write_b64 v91, v[7:8] offset:5280
	ds_write_b64 v6, v[11:12] offset:12000
	ds_read_b64 v[7:8], v91 offset:5760
	ds_read_b64 v[11:12], v6 offset:11520
	;; [unrolled: 22-line block ×7, first 2 shown]
	s_waitcnt lgkmcnt(0)
	v_sub_f32_e32 v7, v0, v4
	v_add_f32_e32 v8, v1, v5
	v_sub_f32_e32 v1, v1, v5
	v_add_f32_e32 v4, v0, v4
	v_mul_f32_e32 v5, 0.5, v7
	v_mul_f32_e32 v7, 0.5, v8
	;; [unrolled: 1-line block ×3, first 2 shown]
	s_waitcnt vmcnt(0)
	v_mul_f32_e32 v8, v3, v5
	v_fma_f32 v9, v7, v3, v1
	v_fma_f32 v3, v7, v3, -v1
	v_fma_f32 v0, 0.5, v4, v8
	v_fma_f32 v4, v4, 0.5, -v8
	v_fma_f32 v1, -v2, v5, v9
	v_fma_f32 v3, -v2, v5, v3
	v_fmac_f32_e32 v0, v2, v7
	v_fma_f32 v2, -v2, v7, v4
	ds_write_b64 v91, v[0:1] offset:8160
	ds_write_b64 v6, v[2:3] offset:9120
	s_waitcnt lgkmcnt(0)
	s_barrier
	buffer_gl0_inv
	s_and_saveexec_b32 s0, vcc_lo
	s_cbranch_execz .LBB0_22
; %bb.20:
	v_mul_lo_u32 v2, s3, v86
	v_mul_lo_u32 v3, s2, v87
	v_mad_u64_u32 v[0:1], null, s2, v86, 0
	v_lshl_add_u32 v24, v80, 3, 0
	v_mov_b32_e32 v81, v85
	v_lshlrev_b64 v[6:7], 3, v[82:83]
	v_add_nc_u32_e32 v84, 60, v80
	v_add_nc_u32_e32 v25, 0x2000, v24
	v_add3_u32 v1, v1, v3, v2
	ds_read2_b64 v[2:5], v24 offset1:60
	v_lshlrev_b64 v[8:9], 3, v[80:81]
	v_lshlrev_b64 v[10:11], 3, v[84:85]
	v_add_nc_u32_e32 v84, 0x78, v80
	v_lshlrev_b64 v[0:1], 3, v[0:1]
	v_lshlrev_b64 v[12:13], 3, v[84:85]
	v_add_nc_u32_e32 v84, 0xb4, v80
	v_add_co_u32 v0, vcc_lo, s10, v0
	v_add_co_ci_u32_e32 v1, vcc_lo, s11, v1, vcc_lo
	v_add_co_u32 v0, vcc_lo, v0, v6
	v_add_co_ci_u32_e32 v1, vcc_lo, v1, v7, vcc_lo
	;; [unrolled: 2-line block ×4, first 2 shown]
	ds_read2_b64 v[6:9], v24 offset0:120 offset1:180
	s_waitcnt lgkmcnt(1)
	global_store_dwordx2 v[14:15], v[2:3], off
	global_store_dwordx2 v[10:11], v[4:5], off
	v_lshlrev_b64 v[10:11], 3, v[84:85]
	v_add_nc_u32_e32 v84, 0xf0, v80
	v_add_nc_u32_e32 v2, 0x400, v24
	v_add_co_u32 v14, vcc_lo, v0, v12
	v_add_co_ci_u32_e32 v15, vcc_lo, v1, v13, vcc_lo
	v_lshlrev_b64 v[12:13], 3, v[84:85]
	v_add_nc_u32_e32 v84, 0x12c, v80
	ds_read2_b64 v[2:5], v2 offset0:112 offset1:172
	v_add_co_u32 v16, vcc_lo, v0, v10
	v_add_co_ci_u32_e32 v17, vcc_lo, v1, v11, vcc_lo
	v_lshlrev_b64 v[10:11], 3, v[84:85]
	v_add_co_u32 v18, vcc_lo, v0, v12
	v_add_nc_u32_e32 v12, 0x800, v24
	v_add_co_ci_u32_e32 v19, vcc_lo, v1, v13, vcc_lo
	v_add_nc_u32_e32 v84, 0x168, v80
	v_add_co_u32 v20, vcc_lo, v0, v10
	v_add_co_ci_u32_e32 v21, vcc_lo, v1, v11, vcc_lo
	ds_read2_b64 v[10:13], v12 offset0:104 offset1:164
	v_lshlrev_b64 v[22:23], 3, v[84:85]
	v_add_nc_u32_e32 v84, 0x1a4, v80
	s_waitcnt lgkmcnt(2)
	global_store_dwordx2 v[14:15], v[6:7], off
	global_store_dwordx2 v[16:17], v[8:9], off
	s_waitcnt lgkmcnt(1)
	global_store_dwordx2 v[18:19], v[2:3], off
	global_store_dwordx2 v[20:21], v[4:5], off
	v_add_nc_u32_e32 v6, 0xc00, v24
	v_add_nc_u32_e32 v7, 0x1000, v24
	;; [unrolled: 1-line block ×3, first 2 shown]
	v_lshlrev_b64 v[2:3], 3, v[84:85]
	v_add_co_u32 v4, vcc_lo, v0, v22
	v_add_co_ci_u32_e32 v5, vcc_lo, v1, v23, vcc_lo
	v_add_nc_u32_e32 v84, 0x1e0, v80
	v_add_co_u32 v2, vcc_lo, v0, v2
	v_add_co_ci_u32_e32 v3, vcc_lo, v1, v3, vcc_lo
	v_lshlrev_b64 v[14:15], 3, v[84:85]
	v_add_nc_u32_e32 v84, 0x21c, v80
	s_waitcnt lgkmcnt(0)
	global_store_dwordx2 v[4:5], v[10:11], off
	global_store_dwordx2 v[2:3], v[12:13], off
	ds_read2_b64 v[2:5], v6 offset0:96 offset1:156
	ds_read2_b64 v[6:9], v7 offset0:88 offset1:148
	v_lshlrev_b64 v[10:11], 3, v[84:85]
	v_add_nc_u32_e32 v84, 0x258, v80
	v_add_co_u32 v12, vcc_lo, v0, v14
	v_add_co_ci_u32_e32 v13, vcc_lo, v1, v15, vcc_lo
	v_lshlrev_b64 v[14:15], 3, v[84:85]
	v_add_co_u32 v10, vcc_lo, v0, v10
	v_add_co_ci_u32_e32 v11, vcc_lo, v1, v11, vcc_lo
	v_add_nc_u32_e32 v84, 0x294, v80
	v_add_co_u32 v14, vcc_lo, v0, v14
	v_add_co_ci_u32_e32 v15, vcc_lo, v1, v15, vcc_lo
	v_lshlrev_b64 v[16:17], 3, v[84:85]
	v_add_nc_u32_e32 v84, 0x2d0, v80
	s_waitcnt lgkmcnt(1)
	global_store_dwordx2 v[12:13], v[2:3], off
	global_store_dwordx2 v[10:11], v[4:5], off
	s_waitcnt lgkmcnt(0)
	global_store_dwordx2 v[14:15], v[6:7], off
	ds_read2_b64 v[2:5], v18 offset0:80 offset1:140
	v_lshlrev_b64 v[6:7], 3, v[84:85]
	v_add_nc_u32_e32 v84, 0x30c, v80
	v_add_co_u32 v10, vcc_lo, v0, v16
	v_add_co_ci_u32_e32 v11, vcc_lo, v1, v17, vcc_lo
	v_lshlrev_b64 v[12:13], 3, v[84:85]
	v_add_nc_u32_e32 v84, 0x348, v80
	v_add_co_u32 v6, vcc_lo, v0, v6
	v_add_co_ci_u32_e32 v7, vcc_lo, v1, v7, vcc_lo
	v_add_co_u32 v12, vcc_lo, v0, v12
	v_lshlrev_b64 v[14:15], 3, v[84:85]
	v_add_nc_u32_e32 v84, 0x384, v80
	v_add_co_ci_u32_e32 v13, vcc_lo, v1, v13, vcc_lo
	global_store_dwordx2 v[10:11], v[8:9], off
	s_waitcnt lgkmcnt(0)
	global_store_dwordx2 v[6:7], v[2:3], off
	global_store_dwordx2 v[12:13], v[4:5], off
	v_lshlrev_b64 v[10:11], 3, v[84:85]
	v_add_nc_u32_e32 v84, 0x3c0, v80
	v_add_nc_u32_e32 v16, 0x1800, v24
	v_add_co_u32 v14, vcc_lo, v0, v14
	v_add_co_ci_u32_e32 v15, vcc_lo, v1, v15, vcc_lo
	v_lshlrev_b64 v[12:13], 3, v[84:85]
	v_add_nc_u32_e32 v84, 0x3fc, v80
	ds_read2_b64 v[2:5], v16 offset0:72 offset1:132
	ds_read2_b64 v[6:9], v16 offset0:192 offset1:252
	v_add_co_u32 v16, vcc_lo, v0, v10
	v_add_co_ci_u32_e32 v17, vcc_lo, v1, v11, vcc_lo
	v_lshlrev_b64 v[10:11], 3, v[84:85]
	v_add_co_u32 v18, vcc_lo, v0, v12
	v_add_co_ci_u32_e32 v19, vcc_lo, v1, v13, vcc_lo
	v_add_nc_u32_e32 v84, 0x438, v80
	v_add_co_u32 v20, vcc_lo, v0, v10
	v_add_co_ci_u32_e32 v21, vcc_lo, v1, v11, vcc_lo
	ds_read2_b64 v[10:13], v25 offset0:56 offset1:116
	v_lshlrev_b64 v[22:23], 3, v[84:85]
	v_add_nc_u32_e32 v84, 0x474, v80
	s_waitcnt lgkmcnt(2)
	global_store_dwordx2 v[14:15], v[2:3], off
	global_store_dwordx2 v[16:17], v[4:5], off
	s_waitcnt lgkmcnt(1)
	global_store_dwordx2 v[18:19], v[6:7], off
	global_store_dwordx2 v[20:21], v[8:9], off
	v_add_nc_u32_e32 v18, 0x2800, v24
	v_lshlrev_b64 v[2:3], 3, v[84:85]
	v_add_co_u32 v4, vcc_lo, v0, v22
	v_add_co_ci_u32_e32 v5, vcc_lo, v1, v23, vcc_lo
	v_add_nc_u32_e32 v84, 0x4b0, v80
	v_add_co_u32 v2, vcc_lo, v0, v2
	v_add_co_ci_u32_e32 v3, vcc_lo, v1, v3, vcc_lo
	v_lshlrev_b64 v[14:15], 3, v[84:85]
	v_add_nc_u32_e32 v84, 0x4ec, v80
	s_waitcnt lgkmcnt(0)
	global_store_dwordx2 v[4:5], v[10:11], off
	global_store_dwordx2 v[2:3], v[12:13], off
	ds_read2_b64 v[2:5], v25 offset0:176 offset1:236
	ds_read2_b64 v[6:9], v18 offset0:40 offset1:100
	v_lshlrev_b64 v[10:11], 3, v[84:85]
	v_add_nc_u32_e32 v84, 0x528, v80
	v_add_co_u32 v12, vcc_lo, v0, v14
	v_add_co_ci_u32_e32 v13, vcc_lo, v1, v15, vcc_lo
	v_lshlrev_b64 v[14:15], 3, v[84:85]
	v_add_co_u32 v10, vcc_lo, v0, v10
	v_add_co_ci_u32_e32 v11, vcc_lo, v1, v11, vcc_lo
	v_add_nc_u32_e32 v84, 0x564, v80
	v_add_co_u32 v14, vcc_lo, v0, v14
	v_add_co_ci_u32_e32 v15, vcc_lo, v1, v15, vcc_lo
	v_lshlrev_b64 v[16:17], 3, v[84:85]
	v_add_nc_u32_e32 v84, 0x5a0, v80
	s_waitcnt lgkmcnt(1)
	global_store_dwordx2 v[12:13], v[2:3], off
	global_store_dwordx2 v[10:11], v[4:5], off
	s_waitcnt lgkmcnt(0)
	global_store_dwordx2 v[14:15], v[6:7], off
	ds_read2_b64 v[2:5], v18 offset0:160 offset1:220
	v_add_nc_u32_e32 v25, 0x3800, v24
	v_lshlrev_b64 v[6:7], 3, v[84:85]
	v_add_nc_u32_e32 v84, 0x5dc, v80
	v_add_co_u32 v10, vcc_lo, v0, v16
	v_add_co_ci_u32_e32 v11, vcc_lo, v1, v17, vcc_lo
	v_lshlrev_b64 v[12:13], 3, v[84:85]
	v_add_nc_u32_e32 v84, 0x618, v80
	v_add_co_u32 v6, vcc_lo, v0, v6
	v_add_co_ci_u32_e32 v7, vcc_lo, v1, v7, vcc_lo
	v_add_co_u32 v12, vcc_lo, v0, v12
	v_lshlrev_b64 v[14:15], 3, v[84:85]
	v_add_nc_u32_e32 v84, 0x654, v80
	v_add_co_ci_u32_e32 v13, vcc_lo, v1, v13, vcc_lo
	v_add_nc_u32_e32 v16, 0x3000, v24
	global_store_dwordx2 v[10:11], v[8:9], off
	s_waitcnt lgkmcnt(0)
	global_store_dwordx2 v[6:7], v[2:3], off
	global_store_dwordx2 v[12:13], v[4:5], off
	v_lshlrev_b64 v[10:11], 3, v[84:85]
	v_add_nc_u32_e32 v84, 0x690, v80
	v_add_co_u32 v14, vcc_lo, v0, v14
	ds_read2_b64 v[2:5], v16 offset0:24 offset1:84
	ds_read2_b64 v[6:9], v16 offset0:144 offset1:204
	v_lshlrev_b64 v[12:13], 3, v[84:85]
	v_add_co_ci_u32_e32 v15, vcc_lo, v1, v15, vcc_lo
	v_add_nc_u32_e32 v84, 0x6cc, v80
	v_add_co_u32 v16, vcc_lo, v0, v10
	v_add_co_ci_u32_e32 v17, vcc_lo, v1, v11, vcc_lo
	v_add_co_u32 v20, vcc_lo, v0, v12
	v_lshlrev_b64 v[18:19], 3, v[84:85]
	v_add_co_ci_u32_e32 v21, vcc_lo, v1, v13, vcc_lo
	v_add_nc_u32_e32 v84, 0x708, v80
	ds_read2_b64 v[10:13], v25 offset0:8 offset1:68
	v_add_co_u32 v18, vcc_lo, v0, v18
	v_lshlrev_b64 v[22:23], 3, v[84:85]
	v_add_nc_u32_e32 v84, 0x744, v80
	v_add_co_ci_u32_e32 v19, vcc_lo, v1, v19, vcc_lo
	s_waitcnt lgkmcnt(2)
	global_store_dwordx2 v[14:15], v[2:3], off
	global_store_dwordx2 v[16:17], v[4:5], off
	s_waitcnt lgkmcnt(1)
	global_store_dwordx2 v[20:21], v[6:7], off
	global_store_dwordx2 v[18:19], v[8:9], off
	v_add_nc_u32_e32 v6, 0x3c00, v24
	v_lshlrev_b64 v[2:3], 3, v[84:85]
	v_add_nc_u32_e32 v84, 0x780, v80
	v_add_co_u32 v4, vcc_lo, v0, v22
	v_add_co_ci_u32_e32 v5, vcc_lo, v1, v23, vcc_lo
	v_lshlrev_b64 v[14:15], 3, v[84:85]
	v_add_nc_u32_e32 v84, 0x7bc, v80
	v_add_co_u32 v2, vcc_lo, v0, v2
	v_add_co_ci_u32_e32 v3, vcc_lo, v1, v3, vcc_lo
	s_waitcnt lgkmcnt(0)
	global_store_dwordx2 v[4:5], v[10:11], off
	v_lshlrev_b64 v[10:11], 3, v[84:85]
	v_add_nc_u32_e32 v84, 0x7f8, v80
	global_store_dwordx2 v[2:3], v[12:13], off
	v_add_co_u32 v12, vcc_lo, v0, v14
	ds_read2_b64 v[2:5], v25 offset0:128 offset1:188
	v_add_co_ci_u32_e32 v13, vcc_lo, v1, v15, vcc_lo
	v_lshlrev_b64 v[14:15], 3, v[84:85]
	v_add_nc_u32_e32 v84, 0x834, v80
	ds_read2_b64 v[6:9], v6 offset0:120 offset1:180
	v_add_co_u32 v10, vcc_lo, v0, v10
	v_add_co_ci_u32_e32 v11, vcc_lo, v1, v11, vcc_lo
	v_lshlrev_b64 v[16:17], 3, v[84:85]
	v_add_co_u32 v14, vcc_lo, v0, v14
	v_add_co_ci_u32_e32 v15, vcc_lo, v1, v15, vcc_lo
	v_add_co_u32 v16, vcc_lo, v0, v16
	v_add_co_ci_u32_e32 v17, vcc_lo, v1, v17, vcc_lo
	v_cmp_eq_u32_e32 vcc_lo, 59, v80
	s_waitcnt lgkmcnt(1)
	global_store_dwordx2 v[12:13], v[2:3], off
	global_store_dwordx2 v[10:11], v[4:5], off
	s_waitcnt lgkmcnt(0)
	global_store_dwordx2 v[14:15], v[6:7], off
	global_store_dwordx2 v[16:17], v[8:9], off
	s_and_b32 exec_lo, exec_lo, vcc_lo
	s_cbranch_execz .LBB0_22
; %bb.21:
	v_mov_b32_e32 v2, 0
	v_add_co_u32 v0, vcc_lo, 0x4000, v0
	v_add_co_ci_u32_e32 v1, vcc_lo, 0, v1, vcc_lo
	ds_read_b64 v[2:3], v2 offset:17280
	s_waitcnt lgkmcnt(0)
	global_store_dwordx2 v[0:1], v[2:3], off offset:896
.LBB0_22:
	s_endpgm
	.section	.rodata,"a",@progbits
	.p2align	6, 0x0
	.amdhsa_kernel fft_rtc_back_len2160_factors_10_6_6_6_wgs_60_tpt_60_halfLds_sp_op_CI_CI_unitstride_sbrr_R2C_dirReg
		.amdhsa_group_segment_fixed_size 0
		.amdhsa_private_segment_fixed_size 0
		.amdhsa_kernarg_size 104
		.amdhsa_user_sgpr_count 6
		.amdhsa_user_sgpr_private_segment_buffer 1
		.amdhsa_user_sgpr_dispatch_ptr 0
		.amdhsa_user_sgpr_queue_ptr 0
		.amdhsa_user_sgpr_kernarg_segment_ptr 1
		.amdhsa_user_sgpr_dispatch_id 0
		.amdhsa_user_sgpr_flat_scratch_init 0
		.amdhsa_user_sgpr_private_segment_size 0
		.amdhsa_wavefront_size32 1
		.amdhsa_uses_dynamic_stack 0
		.amdhsa_system_sgpr_private_segment_wavefront_offset 0
		.amdhsa_system_sgpr_workgroup_id_x 1
		.amdhsa_system_sgpr_workgroup_id_y 0
		.amdhsa_system_sgpr_workgroup_id_z 0
		.amdhsa_system_sgpr_workgroup_info 0
		.amdhsa_system_vgpr_workitem_id 0
		.amdhsa_next_free_vgpr 135
		.amdhsa_next_free_sgpr 27
		.amdhsa_reserve_vcc 1
		.amdhsa_reserve_flat_scratch 0
		.amdhsa_float_round_mode_32 0
		.amdhsa_float_round_mode_16_64 0
		.amdhsa_float_denorm_mode_32 3
		.amdhsa_float_denorm_mode_16_64 3
		.amdhsa_dx10_clamp 1
		.amdhsa_ieee_mode 1
		.amdhsa_fp16_overflow 0
		.amdhsa_workgroup_processor_mode 1
		.amdhsa_memory_ordered 1
		.amdhsa_forward_progress 0
		.amdhsa_shared_vgpr_count 0
		.amdhsa_exception_fp_ieee_invalid_op 0
		.amdhsa_exception_fp_denorm_src 0
		.amdhsa_exception_fp_ieee_div_zero 0
		.amdhsa_exception_fp_ieee_overflow 0
		.amdhsa_exception_fp_ieee_underflow 0
		.amdhsa_exception_fp_ieee_inexact 0
		.amdhsa_exception_int_div_zero 0
	.end_amdhsa_kernel
	.text
.Lfunc_end0:
	.size	fft_rtc_back_len2160_factors_10_6_6_6_wgs_60_tpt_60_halfLds_sp_op_CI_CI_unitstride_sbrr_R2C_dirReg, .Lfunc_end0-fft_rtc_back_len2160_factors_10_6_6_6_wgs_60_tpt_60_halfLds_sp_op_CI_CI_unitstride_sbrr_R2C_dirReg
                                        ; -- End function
	.section	.AMDGPU.csdata,"",@progbits
; Kernel info:
; codeLenInByte = 20096
; NumSgprs: 29
; NumVgprs: 135
; ScratchSize: 0
; MemoryBound: 0
; FloatMode: 240
; IeeeMode: 1
; LDSByteSize: 0 bytes/workgroup (compile time only)
; SGPRBlocks: 3
; VGPRBlocks: 16
; NumSGPRsForWavesPerEU: 29
; NumVGPRsForWavesPerEU: 135
; Occupancy: 7
; WaveLimiterHint : 1
; COMPUTE_PGM_RSRC2:SCRATCH_EN: 0
; COMPUTE_PGM_RSRC2:USER_SGPR: 6
; COMPUTE_PGM_RSRC2:TRAP_HANDLER: 0
; COMPUTE_PGM_RSRC2:TGID_X_EN: 1
; COMPUTE_PGM_RSRC2:TGID_Y_EN: 0
; COMPUTE_PGM_RSRC2:TGID_Z_EN: 0
; COMPUTE_PGM_RSRC2:TIDIG_COMP_CNT: 0
	.text
	.p2alignl 6, 3214868480
	.fill 48, 4, 3214868480
	.type	__hip_cuid_5a697e755752b0ff,@object ; @__hip_cuid_5a697e755752b0ff
	.section	.bss,"aw",@nobits
	.globl	__hip_cuid_5a697e755752b0ff
__hip_cuid_5a697e755752b0ff:
	.byte	0                               ; 0x0
	.size	__hip_cuid_5a697e755752b0ff, 1

	.ident	"AMD clang version 19.0.0git (https://github.com/RadeonOpenCompute/llvm-project roc-6.4.0 25133 c7fe45cf4b819c5991fe208aaa96edf142730f1d)"
	.section	".note.GNU-stack","",@progbits
	.addrsig
	.addrsig_sym __hip_cuid_5a697e755752b0ff
	.amdgpu_metadata
---
amdhsa.kernels:
  - .args:
      - .actual_access:  read_only
        .address_space:  global
        .offset:         0
        .size:           8
        .value_kind:     global_buffer
      - .offset:         8
        .size:           8
        .value_kind:     by_value
      - .actual_access:  read_only
        .address_space:  global
        .offset:         16
        .size:           8
        .value_kind:     global_buffer
      - .actual_access:  read_only
        .address_space:  global
        .offset:         24
        .size:           8
        .value_kind:     global_buffer
      - .actual_access:  read_only
        .address_space:  global
        .offset:         32
        .size:           8
        .value_kind:     global_buffer
      - .offset:         40
        .size:           8
        .value_kind:     by_value
      - .actual_access:  read_only
        .address_space:  global
        .offset:         48
        .size:           8
        .value_kind:     global_buffer
      - .actual_access:  read_only
        .address_space:  global
        .offset:         56
        .size:           8
        .value_kind:     global_buffer
      - .offset:         64
        .size:           4
        .value_kind:     by_value
      - .actual_access:  read_only
        .address_space:  global
        .offset:         72
        .size:           8
        .value_kind:     global_buffer
      - .actual_access:  read_only
        .address_space:  global
        .offset:         80
        .size:           8
        .value_kind:     global_buffer
      - .actual_access:  read_only
        .address_space:  global
        .offset:         88
        .size:           8
        .value_kind:     global_buffer
      - .actual_access:  write_only
        .address_space:  global
        .offset:         96
        .size:           8
        .value_kind:     global_buffer
    .group_segment_fixed_size: 0
    .kernarg_segment_align: 8
    .kernarg_segment_size: 104
    .language:       OpenCL C
    .language_version:
      - 2
      - 0
    .max_flat_workgroup_size: 60
    .name:           fft_rtc_back_len2160_factors_10_6_6_6_wgs_60_tpt_60_halfLds_sp_op_CI_CI_unitstride_sbrr_R2C_dirReg
    .private_segment_fixed_size: 0
    .sgpr_count:     29
    .sgpr_spill_count: 0
    .symbol:         fft_rtc_back_len2160_factors_10_6_6_6_wgs_60_tpt_60_halfLds_sp_op_CI_CI_unitstride_sbrr_R2C_dirReg.kd
    .uniform_work_group_size: 1
    .uses_dynamic_stack: false
    .vgpr_count:     135
    .vgpr_spill_count: 0
    .wavefront_size: 32
    .workgroup_processor_mode: 1
amdhsa.target:   amdgcn-amd-amdhsa--gfx1030
amdhsa.version:
  - 1
  - 2
...

	.end_amdgpu_metadata
